;; amdgpu-corpus repo=ROCm/rocFFT kind=compiled arch=gfx906 opt=O3
	.text
	.amdgcn_target "amdgcn-amd-amdhsa--gfx906"
	.amdhsa_code_object_version 6
	.protected	fft_rtc_fwd_len2025_factors_3_3_5_5_3_3_wgs_135_tpt_135_halfLds_sp_ip_CI_sbrr_dirReg ; -- Begin function fft_rtc_fwd_len2025_factors_3_3_5_5_3_3_wgs_135_tpt_135_halfLds_sp_ip_CI_sbrr_dirReg
	.globl	fft_rtc_fwd_len2025_factors_3_3_5_5_3_3_wgs_135_tpt_135_halfLds_sp_ip_CI_sbrr_dirReg
	.p2align	8
	.type	fft_rtc_fwd_len2025_factors_3_3_5_5_3_3_wgs_135_tpt_135_halfLds_sp_ip_CI_sbrr_dirReg,@function
fft_rtc_fwd_len2025_factors_3_3_5_5_3_3_wgs_135_tpt_135_halfLds_sp_ip_CI_sbrr_dirReg: ; @fft_rtc_fwd_len2025_factors_3_3_5_5_3_3_wgs_135_tpt_135_halfLds_sp_ip_CI_sbrr_dirReg
; %bb.0:
	s_load_dwordx2 s[14:15], s[4:5], 0x18
	s_load_dwordx4 s[8:11], s[4:5], 0x0
	s_load_dwordx2 s[12:13], s[4:5], 0x50
	v_mul_u32_u24_e32 v1, 0x1e6, v0
	v_add_u32_sdwa v5, s6, v1 dst_sel:DWORD dst_unused:UNUSED_PAD src0_sel:DWORD src1_sel:WORD_1
	s_waitcnt lgkmcnt(0)
	s_load_dwordx2 s[2:3], s[14:15], 0x0
	v_cmp_lt_u64_e64 s[0:1], s[10:11], 2
	v_mov_b32_e32 v3, 0
	v_mov_b32_e32 v1, 0
	;; [unrolled: 1-line block ×3, first 2 shown]
	s_and_b64 vcc, exec, s[0:1]
	v_mov_b32_e32 v2, 0
	s_cbranch_vccnz .LBB0_8
; %bb.1:
	s_load_dwordx2 s[0:1], s[4:5], 0x10
	s_add_u32 s6, s14, 8
	s_addc_u32 s7, s15, 0
	v_mov_b32_e32 v1, 0
	v_mov_b32_e32 v2, 0
	s_waitcnt lgkmcnt(0)
	s_add_u32 s16, s0, 8
	s_addc_u32 s17, s1, 0
	s_mov_b64 s[18:19], 1
.LBB0_2:                                ; =>This Inner Loop Header: Depth=1
	s_load_dwordx2 s[20:21], s[16:17], 0x0
                                        ; implicit-def: $vgpr7_vgpr8
	s_waitcnt lgkmcnt(0)
	v_or_b32_e32 v4, s21, v6
	v_cmp_ne_u64_e32 vcc, 0, v[3:4]
	s_and_saveexec_b64 s[0:1], vcc
	s_xor_b64 s[22:23], exec, s[0:1]
	s_cbranch_execz .LBB0_4
; %bb.3:                                ;   in Loop: Header=BB0_2 Depth=1
	v_cvt_f32_u32_e32 v4, s20
	v_cvt_f32_u32_e32 v7, s21
	s_sub_u32 s0, 0, s20
	s_subb_u32 s1, 0, s21
	v_mac_f32_e32 v4, 0x4f800000, v7
	v_rcp_f32_e32 v4, v4
	v_mul_f32_e32 v4, 0x5f7ffffc, v4
	v_mul_f32_e32 v7, 0x2f800000, v4
	v_trunc_f32_e32 v7, v7
	v_mac_f32_e32 v4, 0xcf800000, v7
	v_cvt_u32_f32_e32 v7, v7
	v_cvt_u32_f32_e32 v4, v4
	v_mul_lo_u32 v8, s0, v7
	v_mul_hi_u32 v9, s0, v4
	v_mul_lo_u32 v11, s1, v4
	v_mul_lo_u32 v10, s0, v4
	v_add_u32_e32 v8, v9, v8
	v_add_u32_e32 v8, v8, v11
	v_mul_hi_u32 v9, v4, v10
	v_mul_lo_u32 v11, v4, v8
	v_mul_hi_u32 v13, v4, v8
	v_mul_hi_u32 v12, v7, v10
	v_mul_lo_u32 v10, v7, v10
	v_mul_hi_u32 v14, v7, v8
	v_add_co_u32_e32 v9, vcc, v9, v11
	v_addc_co_u32_e32 v11, vcc, 0, v13, vcc
	v_mul_lo_u32 v8, v7, v8
	v_add_co_u32_e32 v9, vcc, v9, v10
	v_addc_co_u32_e32 v9, vcc, v11, v12, vcc
	v_addc_co_u32_e32 v10, vcc, 0, v14, vcc
	v_add_co_u32_e32 v8, vcc, v9, v8
	v_addc_co_u32_e32 v9, vcc, 0, v10, vcc
	v_add_co_u32_e32 v4, vcc, v4, v8
	v_addc_co_u32_e32 v7, vcc, v7, v9, vcc
	v_mul_lo_u32 v8, s0, v7
	v_mul_hi_u32 v9, s0, v4
	v_mul_lo_u32 v10, s1, v4
	v_mul_lo_u32 v11, s0, v4
	v_add_u32_e32 v8, v9, v8
	v_add_u32_e32 v8, v8, v10
	v_mul_lo_u32 v12, v4, v8
	v_mul_hi_u32 v13, v4, v11
	v_mul_hi_u32 v14, v4, v8
	;; [unrolled: 1-line block ×3, first 2 shown]
	v_mul_lo_u32 v11, v7, v11
	v_mul_hi_u32 v9, v7, v8
	v_add_co_u32_e32 v12, vcc, v13, v12
	v_addc_co_u32_e32 v13, vcc, 0, v14, vcc
	v_mul_lo_u32 v8, v7, v8
	v_add_co_u32_e32 v11, vcc, v12, v11
	v_addc_co_u32_e32 v10, vcc, v13, v10, vcc
	v_addc_co_u32_e32 v9, vcc, 0, v9, vcc
	v_add_co_u32_e32 v8, vcc, v10, v8
	v_addc_co_u32_e32 v9, vcc, 0, v9, vcc
	v_add_co_u32_e32 v4, vcc, v4, v8
	v_addc_co_u32_e32 v9, vcc, v7, v9, vcc
	v_mad_u64_u32 v[7:8], s[0:1], v5, v9, 0
	v_mul_hi_u32 v10, v5, v4
	v_add_co_u32_e32 v11, vcc, v10, v7
	v_addc_co_u32_e32 v12, vcc, 0, v8, vcc
	v_mad_u64_u32 v[7:8], s[0:1], v6, v4, 0
	v_mad_u64_u32 v[9:10], s[0:1], v6, v9, 0
	v_add_co_u32_e32 v4, vcc, v11, v7
	v_addc_co_u32_e32 v4, vcc, v12, v8, vcc
	v_addc_co_u32_e32 v7, vcc, 0, v10, vcc
	v_add_co_u32_e32 v4, vcc, v4, v9
	v_addc_co_u32_e32 v9, vcc, 0, v7, vcc
	v_mul_lo_u32 v10, s21, v4
	v_mul_lo_u32 v11, s20, v9
	v_mad_u64_u32 v[7:8], s[0:1], s20, v4, 0
	v_add3_u32 v8, v8, v11, v10
	v_sub_u32_e32 v10, v6, v8
	v_mov_b32_e32 v11, s21
	v_sub_co_u32_e32 v7, vcc, v5, v7
	v_subb_co_u32_e64 v10, s[0:1], v10, v11, vcc
	v_subrev_co_u32_e64 v11, s[0:1], s20, v7
	v_subbrev_co_u32_e64 v10, s[0:1], 0, v10, s[0:1]
	v_cmp_le_u32_e64 s[0:1], s21, v10
	v_cndmask_b32_e64 v12, 0, -1, s[0:1]
	v_cmp_le_u32_e64 s[0:1], s20, v11
	v_cndmask_b32_e64 v11, 0, -1, s[0:1]
	v_cmp_eq_u32_e64 s[0:1], s21, v10
	v_cndmask_b32_e64 v10, v12, v11, s[0:1]
	v_add_co_u32_e64 v11, s[0:1], 2, v4
	v_addc_co_u32_e64 v12, s[0:1], 0, v9, s[0:1]
	v_add_co_u32_e64 v13, s[0:1], 1, v4
	v_addc_co_u32_e64 v14, s[0:1], 0, v9, s[0:1]
	v_subb_co_u32_e32 v8, vcc, v6, v8, vcc
	v_cmp_ne_u32_e64 s[0:1], 0, v10
	v_cmp_le_u32_e32 vcc, s21, v8
	v_cndmask_b32_e64 v10, v14, v12, s[0:1]
	v_cndmask_b32_e64 v12, 0, -1, vcc
	v_cmp_le_u32_e32 vcc, s20, v7
	v_cndmask_b32_e64 v7, 0, -1, vcc
	v_cmp_eq_u32_e32 vcc, s21, v8
	v_cndmask_b32_e32 v7, v12, v7, vcc
	v_cmp_ne_u32_e32 vcc, 0, v7
	v_cndmask_b32_e64 v7, v13, v11, s[0:1]
	v_cndmask_b32_e32 v8, v9, v10, vcc
	v_cndmask_b32_e32 v7, v4, v7, vcc
.LBB0_4:                                ;   in Loop: Header=BB0_2 Depth=1
	s_andn2_saveexec_b64 s[0:1], s[22:23]
	s_cbranch_execz .LBB0_6
; %bb.5:                                ;   in Loop: Header=BB0_2 Depth=1
	v_cvt_f32_u32_e32 v4, s20
	s_sub_i32 s22, 0, s20
	v_rcp_iflag_f32_e32 v4, v4
	v_mul_f32_e32 v4, 0x4f7ffffe, v4
	v_cvt_u32_f32_e32 v4, v4
	v_mul_lo_u32 v7, s22, v4
	v_mul_hi_u32 v7, v4, v7
	v_add_u32_e32 v4, v4, v7
	v_mul_hi_u32 v4, v5, v4
	v_mul_lo_u32 v7, v4, s20
	v_add_u32_e32 v8, 1, v4
	v_sub_u32_e32 v7, v5, v7
	v_subrev_u32_e32 v9, s20, v7
	v_cmp_le_u32_e32 vcc, s20, v7
	v_cndmask_b32_e32 v7, v7, v9, vcc
	v_cndmask_b32_e32 v4, v4, v8, vcc
	v_add_u32_e32 v8, 1, v4
	v_cmp_le_u32_e32 vcc, s20, v7
	v_cndmask_b32_e32 v7, v4, v8, vcc
	v_mov_b32_e32 v8, v3
.LBB0_6:                                ;   in Loop: Header=BB0_2 Depth=1
	s_or_b64 exec, exec, s[0:1]
	v_mul_lo_u32 v4, v8, s20
	v_mul_lo_u32 v11, v7, s21
	v_mad_u64_u32 v[9:10], s[0:1], v7, s20, 0
	s_load_dwordx2 s[0:1], s[6:7], 0x0
	s_add_u32 s18, s18, 1
	v_add3_u32 v4, v10, v11, v4
	v_sub_co_u32_e32 v5, vcc, v5, v9
	v_subb_co_u32_e32 v4, vcc, v6, v4, vcc
	s_waitcnt lgkmcnt(0)
	v_mul_lo_u32 v4, s0, v4
	v_mul_lo_u32 v6, s1, v5
	v_mad_u64_u32 v[1:2], s[0:1], s0, v5, v[1:2]
	s_addc_u32 s19, s19, 0
	s_add_u32 s6, s6, 8
	v_add3_u32 v2, v6, v2, v4
	v_mov_b32_e32 v4, s10
	v_mov_b32_e32 v5, s11
	s_addc_u32 s7, s7, 0
	v_cmp_ge_u64_e32 vcc, s[18:19], v[4:5]
	s_add_u32 s16, s16, 8
	s_addc_u32 s17, s17, 0
	s_cbranch_vccnz .LBB0_9
; %bb.7:                                ;   in Loop: Header=BB0_2 Depth=1
	v_mov_b32_e32 v5, v7
	v_mov_b32_e32 v6, v8
	s_branch .LBB0_2
.LBB0_8:
	v_mov_b32_e32 v8, v6
	v_mov_b32_e32 v7, v5
.LBB0_9:
	s_lshl_b64 s[0:1], s[10:11], 3
	s_add_u32 s0, s14, s0
	s_addc_u32 s1, s15, s1
	s_load_dwordx2 s[6:7], s[0:1], 0x0
	s_load_dwordx2 s[10:11], s[4:5], 0x20
                                        ; implicit-def: $vgpr33
                                        ; implicit-def: $vgpr34
                                        ; implicit-def: $vgpr35
                                        ; implicit-def: $vgpr36
	s_waitcnt lgkmcnt(0)
	v_mad_u64_u32 v[1:2], s[0:1], s6, v7, v[1:2]
	s_mov_b32 s0, 0x1e573ad
	v_mul_lo_u32 v3, s6, v8
	v_mul_lo_u32 v4, s7, v7
	v_mul_hi_u32 v5, v0, s0
	v_cmp_gt_u64_e32 vcc, s[10:11], v[7:8]
	v_cmp_le_u64_e64 s[0:1], s[10:11], v[7:8]
	v_add3_u32 v2, v4, v2, v3
	v_mul_u32_u24_e32 v3, 0x87, v5
	v_sub_u32_e32 v32, v0, v3
	s_and_saveexec_b64 s[4:5], s[0:1]
	s_xor_b64 s[0:1], exec, s[4:5]
; %bb.10:
	v_add_u32_e32 v33, 0x87, v32
	v_add_u32_e32 v34, 0x10e, v32
	;; [unrolled: 1-line block ×4, first 2 shown]
; %bb.11:
	s_or_saveexec_b64 s[4:5], s[0:1]
	v_lshlrev_b64 v[0:1], 3, v[1:2]
                                        ; implicit-def: $vgpr13
                                        ; implicit-def: $vgpr11
                                        ; implicit-def: $vgpr3
                                        ; implicit-def: $vgpr15
                                        ; implicit-def: $vgpr17
                                        ; implicit-def: $vgpr5
                                        ; implicit-def: $vgpr19
                                        ; implicit-def: $vgpr21
                                        ; implicit-def: $vgpr7
                                        ; implicit-def: $vgpr23
                                        ; implicit-def: $vgpr25
                                        ; implicit-def: $vgpr9
                                        ; implicit-def: $vgpr31
                                        ; implicit-def: $vgpr29
                                        ; implicit-def: $vgpr27
	s_xor_b64 exec, exec, s[4:5]
	s_cbranch_execz .LBB0_13
; %bb.12:
	v_mad_u64_u32 v[2:3], s[0:1], s2, v32, 0
	v_add_u32_e32 v7, 0x2a3, v32
	v_mov_b32_e32 v6, s13
	v_mad_u64_u32 v[3:4], s[0:1], s3, v32, v[3:4]
	v_mad_u64_u32 v[4:5], s[0:1], s2, v7, 0
	v_add_co_u32_e64 v10, s[0:1], s12, v0
	v_addc_co_u32_e64 v11, s[0:1], v6, v1, s[0:1]
	v_mad_u64_u32 v[5:6], s[0:1], s3, v7, v[5:6]
	v_add_u32_e32 v8, 0x546, v32
	v_mad_u64_u32 v[6:7], s[0:1], s2, v8, 0
	v_lshlrev_b64 v[2:3], 3, v[2:3]
	v_add_u32_e32 v33, 0x87, v32
	v_add_co_u32_e64 v37, s[0:1], v10, v2
	v_addc_co_u32_e64 v38, s[0:1], v11, v3, s[0:1]
	v_lshlrev_b64 v[2:3], 3, v[4:5]
	v_mov_b32_e32 v4, v7
	v_mad_u64_u32 v[4:5], s[0:1], s3, v8, v[4:5]
	v_mad_u64_u32 v[8:9], s[0:1], s2, v33, 0
	v_add_co_u32_e64 v39, s[0:1], v10, v2
	v_mov_b32_e32 v7, v4
	v_mov_b32_e32 v4, v9
	v_addc_co_u32_e64 v40, s[0:1], v11, v3, s[0:1]
	v_lshlrev_b64 v[2:3], 3, v[6:7]
	v_mad_u64_u32 v[4:5], s[0:1], s3, v33, v[4:5]
	v_add_u32_e32 v7, 0x32a, v32
	v_mad_u64_u32 v[5:6], s[0:1], s2, v7, 0
	v_add_co_u32_e64 v41, s[0:1], v10, v2
	v_mov_b32_e32 v9, v4
	v_mov_b32_e32 v4, v6
	v_addc_co_u32_e64 v42, s[0:1], v11, v3, s[0:1]
	v_lshlrev_b64 v[2:3], 3, v[8:9]
	v_mad_u64_u32 v[6:7], s[0:1], s3, v7, v[4:5]
	v_add_u32_e32 v9, 0x5cd, v32
	v_mad_u64_u32 v[7:8], s[0:1], s2, v9, 0
	v_add_co_u32_e64 v43, s[0:1], v10, v2
	v_mov_b32_e32 v4, v8
	v_addc_co_u32_e64 v44, s[0:1], v11, v3, s[0:1]
	v_lshlrev_b64 v[2:3], 3, v[5:6]
	v_mad_u64_u32 v[4:5], s[0:1], s3, v9, v[4:5]
	v_add_u32_e32 v34, 0x10e, v32
	v_mad_u64_u32 v[5:6], s[0:1], s2, v34, 0
	v_add_co_u32_e64 v45, s[0:1], v10, v2
	v_mov_b32_e32 v8, v4
	v_mov_b32_e32 v4, v6
	v_addc_co_u32_e64 v46, s[0:1], v11, v3, s[0:1]
	v_lshlrev_b64 v[2:3], 3, v[7:8]
	v_mad_u64_u32 v[6:7], s[0:1], s3, v34, v[4:5]
	v_add_u32_e32 v9, 0x3b1, v32
	v_mad_u64_u32 v[7:8], s[0:1], s2, v9, 0
	v_add_co_u32_e64 v47, s[0:1], v10, v2
	;; [unrolled: 15-line block ×5, first 2 shown]
	v_mov_b32_e32 v4, v8
	v_addc_co_u32_e64 v60, s[0:1], v11, v3, s[0:1]
	v_lshlrev_b64 v[2:3], 3, v[5:6]
	v_mad_u64_u32 v[4:5], s[0:1], s3, v9, v[4:5]
	v_add_u32_e32 v9, 0x762, v32
	v_mad_u64_u32 v[5:6], s[0:1], s2, v9, 0
	v_add_co_u32_e64 v61, s[0:1], v10, v2
	v_mov_b32_e32 v8, v4
	v_mov_b32_e32 v4, v6
	v_addc_co_u32_e64 v62, s[0:1], v11, v3, s[0:1]
	v_lshlrev_b64 v[2:3], 3, v[7:8]
	v_mad_u64_u32 v[6:7], s[0:1], s3, v9, v[4:5]
	v_add_co_u32_e64 v63, s[0:1], v10, v2
	v_addc_co_u32_e64 v64, s[0:1], v11, v3, s[0:1]
	v_lshlrev_b64 v[2:3], 3, v[5:6]
	v_add_co_u32_e64 v65, s[0:1], v10, v2
	v_addc_co_u32_e64 v66, s[0:1], v11, v3, s[0:1]
	global_load_dwordx2 v[26:27], v[37:38], off
	global_load_dwordx2 v[28:29], v[39:40], off
	;; [unrolled: 1-line block ×15, first 2 shown]
.LBB0_13:
	s_or_b64 exec, exec, s[4:5]
	s_waitcnt vmcnt(12)
	v_add_f32_e32 v38, v30, v28
	v_add_f32_e32 v37, v28, v26
	v_fmac_f32_e32 v26, -0.5, v38
	v_sub_f32_e32 v38, v29, v31
	v_mov_b32_e32 v39, v26
	v_fmac_f32_e32 v39, 0x3f5db3d7, v38
	v_fmac_f32_e32 v26, 0xbf5db3d7, v38
	v_add_f32_e32 v38, v29, v27
	v_add_f32_e32 v29, v31, v29
	v_sub_f32_e32 v61, v28, v30
	s_waitcnt vmcnt(10)
	v_add_f32_e32 v28, v24, v8
	v_fmac_f32_e32 v27, -0.5, v29
	s_waitcnt vmcnt(9)
	v_add_f32_e32 v29, v22, v28
	v_add_f32_e32 v28, v22, v24
	v_fmac_f32_e32 v8, -0.5, v28
	v_add_f32_e32 v37, v30, v37
	v_sub_f32_e32 v28, v25, v23
	v_mov_b32_e32 v30, v8
	v_fmac_f32_e32 v30, 0x3f5db3d7, v28
	v_fmac_f32_e32 v8, 0xbf5db3d7, v28
	s_waitcnt vmcnt(7)
	v_add_f32_e32 v28, v20, v6
	v_add_f32_e32 v60, v31, v38
	s_waitcnt vmcnt(6)
	v_add_f32_e32 v31, v18, v28
	v_add_f32_e32 v28, v18, v20
	v_fmac_f32_e32 v6, -0.5, v28
	v_sub_f32_e32 v28, v21, v19
	v_mov_b32_e32 v38, v6
	v_fmac_f32_e32 v38, 0x3f5db3d7, v28
	v_fmac_f32_e32 v6, 0xbf5db3d7, v28
	s_waitcnt vmcnt(4)
	v_add_f32_e32 v28, v16, v4
	s_waitcnt vmcnt(3)
	v_add_f32_e32 v40, v14, v28
	v_add_f32_e32 v28, v14, v16
	v_fmac_f32_e32 v4, -0.5, v28
	v_sub_f32_e32 v28, v17, v15
	v_mov_b32_e32 v41, v4
	v_fmac_f32_e32 v41, 0x3f5db3d7, v28
	v_fmac_f32_e32 v4, 0xbf5db3d7, v28
	s_waitcnt vmcnt(1)
	v_add_f32_e32 v28, v10, v2
	s_waitcnt vmcnt(0)
	v_add_f32_e32 v42, v12, v28
	v_add_f32_e32 v28, v12, v10
	v_fmac_f32_e32 v2, -0.5, v28
	v_mad_u32_u24 v63, v32, 12, 0
	ds_write2_b32 v63, v37, v39 offset1:1
	v_sub_f32_e32 v28, v11, v13
	v_mov_b32_e32 v39, v2
	v_fmac_f32_e32 v39, 0x3f5db3d7, v28
	v_fmac_f32_e32 v2, 0xbf5db3d7, v28
	v_mad_i32_i24 v28, v33, 12, 0
	ds_write_b32 v63, v26 offset:8
	ds_write2_b32 v28, v29, v30 offset1:1
	ds_write_b32 v28, v8 offset:8
	v_mad_i32_i24 v30, v34, 12, 0
	ds_write2_b32 v30, v31, v38 offset1:1
	ds_write_b32 v30, v6 offset:8
	v_mad_i32_i24 v37, v35, 12, 0
	v_mad_i32_i24 v38, v36, 12, 0
	ds_write2_b32 v37, v40, v41 offset1:1
	ds_write_b32 v37, v4 offset:8
	ds_write2_b32 v38, v42, v39 offset1:1
	ds_write_b32 v38, v2 offset:8
	v_lshlrev_b32_e32 v2, 3, v32
	v_add_f32_e32 v4, v23, v25
	v_sub_u32_e32 v26, v63, v2
	v_add_f32_e32 v2, v25, v9
	v_fmac_f32_e32 v9, -0.5, v4
	v_mov_b32_e32 v62, v27
	v_sub_f32_e32 v6, v24, v22
	v_add_f32_e32 v8, v21, v7
	v_add_f32_e32 v21, v19, v21
	v_mov_b32_e32 v4, v9
	v_fmac_f32_e32 v62, 0xbf5db3d7, v61
	v_lshlrev_b32_e32 v40, 3, v33
	v_lshlrev_b32_e32 v42, 3, v34
	;; [unrolled: 1-line block ×4, first 2 shown]
	v_fmac_f32_e32 v27, 0x3f5db3d7, v61
	v_add_f32_e32 v2, v23, v2
	v_fmac_f32_e32 v4, 0xbf5db3d7, v6
	v_fmac_f32_e32 v7, -0.5, v21
	s_waitcnt lgkmcnt(0)
	s_barrier
	v_add_u32_e32 v29, 0xa00, v26
	v_add_u32_e32 v39, 0x1200, v26
	v_sub_u32_e32 v46, v28, v40
	v_add_u32_e32 v31, 0x1600, v26
	v_sub_u32_e32 v47, v30, v42
	;; [unrolled: 2-line block ×4, first 2 shown]
	ds_read_b32 v64, v26
	ds_read_b32 v65, v46
	ds_read_b32 v66, v47
	ds_read_b32 v67, v48
	ds_read_b32 v68, v49
	ds_read2_b32 v[50:51], v29 offset0:35 offset1:170
	ds_read2_b32 v[52:53], v39 offset0:63 offset1:198
	;; [unrolled: 1-line block ×5, first 2 shown]
	s_waitcnt lgkmcnt(0)
	s_barrier
	ds_write2_b32 v63, v60, v62 offset1:1
	ds_write_b32 v63, v27 offset:8
	v_sub_f32_e32 v18, v20, v18
	v_add_f32_e32 v8, v19, v8
	v_add_f32_e32 v19, v17, v5
	;; [unrolled: 1-line block ×3, first 2 shown]
	ds_write2_b32 v28, v2, v4 offset1:1
	v_mov_b32_e32 v2, v7
	v_fmac_f32_e32 v9, 0x3f5db3d7, v6
	v_fmac_f32_e32 v2, 0xbf5db3d7, v18
	v_fmac_f32_e32 v5, -0.5, v17
	v_sub_f32_e32 v14, v16, v14
	v_add_f32_e32 v16, v11, v3
	v_add_f32_e32 v11, v13, v11
	ds_write_b32 v28, v9 offset:8
	ds_write2_b32 v30, v8, v2 offset1:1
	v_mov_b32_e32 v2, v5
	v_add_f32_e32 v15, v15, v19
	v_fmac_f32_e32 v7, 0x3f5db3d7, v18
	v_fmac_f32_e32 v2, 0xbf5db3d7, v14
	v_fmac_f32_e32 v3, -0.5, v11
	v_sub_f32_e32 v10, v10, v12
	ds_write_b32 v30, v7 offset:8
	ds_write2_b32 v37, v15, v2 offset1:1
	v_mov_b32_e32 v2, v3
	v_fmac_f32_e32 v5, 0x3f5db3d7, v14
	v_fmac_f32_e32 v2, 0xbf5db3d7, v10
	s_movk_i32 s0, 0xab
	v_add_f32_e32 v12, v13, v16
	v_fmac_f32_e32 v3, 0x3f5db3d7, v10
	ds_write_b32 v37, v5 offset:8
	ds_write2_b32 v38, v12, v2 offset1:1
	ds_write_b32 v38, v3 offset:8
	v_mul_lo_u16_sdwa v2, v32, s0 dst_sel:DWORD dst_unused:UNUSED_PAD src0_sel:BYTE_0 src1_sel:DWORD
	v_lshrrev_b16_e32 v27, 9, v2
	v_mul_lo_u16_e32 v2, 3, v27
	v_sub_u16_e32 v60, v32, v2
	v_mov_b32_e32 v2, 4
	v_lshlrev_b32_sdwa v2, v2, v60 dst_sel:DWORD dst_unused:UNUSED_PAD src0_sel:DWORD src1_sel:BYTE_0
	s_waitcnt lgkmcnt(0)
	s_barrier
	global_load_dwordx4 v[2:5], v2, s[8:9]
	s_mov_b32 s0, 0xaaab
	v_mul_u32_u24_sdwa v6, v33, s0 dst_sel:DWORD dst_unused:UNUSED_PAD src0_sel:WORD_0 src1_sel:DWORD
	v_lshrrev_b32_e32 v61, 17, v6
	v_mul_lo_u16_e32 v6, 3, v61
	v_sub_u16_e32 v62, v33, v6
	v_lshlrev_b32_e32 v6, 4, v62
	global_load_dwordx4 v[6:9], v6, s[8:9]
	v_mul_u32_u24_sdwa v10, v34, s0 dst_sel:DWORD dst_unused:UNUSED_PAD src0_sel:WORD_0 src1_sel:DWORD
	v_lshrrev_b32_e32 v63, 17, v10
	v_mul_lo_u16_e32 v10, 3, v63
	v_sub_u16_e32 v69, v34, v10
	v_lshlrev_b32_e32 v10, 4, v69
	global_load_dwordx4 v[10:13], v10, s[8:9]
	v_mul_u32_u24_sdwa v14, v35, s0 dst_sel:DWORD dst_unused:UNUSED_PAD src0_sel:WORD_0 src1_sel:DWORD
	v_lshrrev_b32_e32 v70, 17, v14
	v_mul_lo_u16_e32 v14, 3, v70
	v_sub_u16_e32 v71, v35, v14
	v_mul_u32_u24_sdwa v18, v36, s0 dst_sel:DWORD dst_unused:UNUSED_PAD src0_sel:WORD_0 src1_sel:DWORD
	v_lshlrev_b32_e32 v14, 4, v71
	global_load_dwordx4 v[14:17], v14, s[8:9]
	v_lshrrev_b32_e32 v72, 17, v18
	v_mul_lo_u16_e32 v18, 3, v72
	v_sub_u16_e32 v73, v36, v18
	v_lshlrev_b32_e32 v18, 4, v73
	global_load_dwordx4 v[18:21], v18, s[8:9]
	ds_read2_b32 v[22:23], v29 offset0:35 offset1:170
	ds_read2_b32 v[24:25], v39 offset0:63 offset1:198
	s_mov_b32 s0, 0xe38f
	s_waitcnt vmcnt(4) lgkmcnt(1)
	v_mul_f32_e32 v74, v22, v3
	v_fma_f32 v74, v50, v2, -v74
	v_mul_f32_e32 v50, v50, v3
	v_fmac_f32_e32 v50, v22, v2
	s_waitcnt lgkmcnt(0)
	v_mul_f32_e32 v2, v25, v5
	v_fma_f32 v22, v53, v4, -v2
	ds_read2_b32 v[2:3], v31 offset0:77 offset1:212
	v_mul_f32_e32 v53, v53, v5
	v_fmac_f32_e32 v53, v25, v4
	s_waitcnt vmcnt(3)
	v_mul_f32_e32 v4, v23, v7
	v_fma_f32 v25, v51, v6, -v4
	v_mul_f32_e32 v7, v51, v7
	s_waitcnt lgkmcnt(0)
	v_mul_f32_e32 v4, v2, v9
	v_fmac_f32_e32 v7, v23, v6
	v_fma_f32 v6, v54, v8, -v4
	ds_read2_b32 v[4:5], v41 offset0:49 offset1:184
	v_mul_f32_e32 v51, v54, v9
	v_fmac_f32_e32 v51, v2, v8
	s_waitcnt vmcnt(2)
	v_mul_f32_e32 v2, v3, v13
	v_fma_f32 v8, v55, v12, -v2
	v_mul_f32_e32 v54, v55, v13
	s_waitcnt lgkmcnt(0)
	v_mul_f32_e32 v2, v4, v11
	v_fmac_f32_e32 v54, v3, v12
	;; [unrolled: 11-line block ×3, first 2 shown]
	v_fma_f32 v5, v58, v16, -v4
	v_mul_f32_e32 v58, v58, v17
	v_fmac_f32_e32 v58, v2, v16
	s_waitcnt vmcnt(0)
	v_mul_f32_e32 v2, v24, v19
	v_fma_f32 v75, v52, v18, -v2
	v_mul_f32_e32 v2, v3, v21
	v_mul_f32_e32 v21, v59, v21
	;; [unrolled: 1-line block ×3, first 2 shown]
	v_fmac_f32_e32 v21, v3, v20
	v_add_f32_e32 v3, v74, v22
	v_mov_b32_e32 v12, 2
	v_fmac_f32_e32 v19, v24, v18
	v_fma_f32 v18, v59, v20, -v2
	v_add_f32_e32 v2, v64, v74
	v_fmac_f32_e32 v64, -0.5, v3
	v_mul_u32_u24_e32 v3, 36, v27
	v_lshlrev_b32_sdwa v4, v12, v60 dst_sel:DWORD dst_unused:UNUSED_PAD src0_sel:DWORD src1_sel:BYTE_0
	v_add3_u32 v20, 0, v3, v4
	v_sub_f32_e32 v3, v50, v53
	v_mov_b32_e32 v4, v64
	v_add_f32_e32 v2, v2, v22
	v_fmac_f32_e32 v4, 0x3f5db3d7, v3
	v_fmac_f32_e32 v64, 0xbf5db3d7, v3
	v_add_f32_e32 v3, v25, v6
	ds_read_b32 v27, v26
	ds_read_b32 v52, v46
	;; [unrolled: 1-line block ×5, first 2 shown]
	s_waitcnt lgkmcnt(0)
	s_barrier
	ds_write2_b32 v20, v2, v4 offset1:3
	v_add_f32_e32 v2, v65, v25
	v_fmac_f32_e32 v65, -0.5, v3
	v_mul_u32_u24_e32 v3, 36, v61
	v_lshlrev_b32_e32 v4, 2, v62
	v_add3_u32 v61, 0, v3, v4
	v_sub_f32_e32 v3, v7, v51
	v_mov_b32_e32 v4, v65
	v_add_f32_e32 v2, v2, v6
	v_fmac_f32_e32 v4, 0x3f5db3d7, v3
	v_fmac_f32_e32 v65, 0xbf5db3d7, v3
	v_add_f32_e32 v3, v55, v8
	ds_write_b32 v20, v64 offset:24
	ds_write2_b32 v61, v2, v4 offset1:3
	v_add_f32_e32 v2, v66, v55
	v_fmac_f32_e32 v66, -0.5, v3
	v_mul_u32_u24_e32 v3, 36, v63
	v_lshlrev_b32_e32 v4, 2, v69
	v_add3_u32 v69, 0, v3, v4
	v_sub_f32_e32 v3, v11, v54
	v_mov_b32_e32 v4, v66
	v_add_f32_e32 v2, v2, v8
	v_fmac_f32_e32 v4, 0x3f5db3d7, v3
	v_fmac_f32_e32 v66, 0xbf5db3d7, v3
	v_add_f32_e32 v3, v56, v5
	ds_write_b32 v61, v65 offset:24
	;; [unrolled: 13-line block ×3, first 2 shown]
	ds_write2_b32 v70, v2, v4 offset1:3
	v_add_f32_e32 v2, v68, v75
	v_fmac_f32_e32 v68, -0.5, v3
	v_mul_u32_u24_e32 v3, 36, v72
	v_lshlrev_b32_e32 v4, 2, v73
	v_add3_u32 v71, 0, v3, v4
	v_sub_f32_e32 v3, v19, v21
	v_mov_b32_e32 v4, v68
	v_add_f32_e32 v2, v2, v18
	v_fmac_f32_e32 v4, 0x3f5db3d7, v3
	ds_write_b32 v70, v67 offset:24
	ds_write2_b32 v71, v2, v4 offset1:3
	v_add_f32_e32 v2, v27, v50
	v_add_f32_e32 v72, v2, v53
	;; [unrolled: 1-line block ×3, first 2 shown]
	v_fmac_f32_e32 v27, -0.5, v2
	v_sub_f32_e32 v22, v74, v22
	v_mov_b32_e32 v50, v27
	v_fmac_f32_e32 v68, 0xbf5db3d7, v3
	v_fmac_f32_e32 v50, 0xbf5db3d7, v22
	;; [unrolled: 1-line block ×3, first 2 shown]
	ds_write_b32 v71, v68 offset:24
	s_waitcnt lgkmcnt(0)
	s_barrier
	ds_read_b32 v4, v26
	v_add_u32_e32 v17, 0xc00, v26
	v_add_u32_e32 v15, 0x1000, v26
	;; [unrolled: 1-line block ×5, first 2 shown]
	ds_read_b32 v73, v48
	ds_read_b32 v2, v47
	;; [unrolled: 1-line block ×3, first 2 shown]
	ds_read_b32 v74, v26 offset:7560
	ds_read2_b32 v[9:10], v17 offset0:42 offset1:177
	ds_read2_b32 v[23:24], v15 offset0:56 offset1:191
	;; [unrolled: 1-line block ×5, first 2 shown]
	s_waitcnt lgkmcnt(0)
	s_barrier
	ds_write2_b32 v20, v72, v50 offset1:3
	ds_write_b32 v20, v27 offset:24
	v_add_f32_e32 v20, v52, v7
	v_add_f32_e32 v7, v7, v51
	v_fmac_f32_e32 v52, -0.5, v7
	v_sub_f32_e32 v6, v25, v6
	v_mov_b32_e32 v7, v52
	v_add_f32_e32 v20, v20, v51
	v_fmac_f32_e32 v7, 0xbf5db3d7, v6
	ds_write2_b32 v61, v20, v7 offset1:3
	v_add_f32_e32 v7, v11, v54
	v_fmac_f32_e32 v52, 0x3f5db3d7, v6
	v_add_f32_e32 v6, v59, v11
	v_fmac_f32_e32 v59, -0.5, v7
	v_sub_f32_e32 v7, v55, v8
	v_mov_b32_e32 v8, v59
	v_add_f32_e32 v6, v6, v54
	v_fmac_f32_e32 v8, 0xbf5db3d7, v7
	v_fmac_f32_e32 v59, 0x3f5db3d7, v7
	v_add_f32_e32 v7, v57, v58
	ds_write_b32 v61, v52 offset:24
	ds_write2_b32 v69, v6, v8 offset1:3
	v_add_f32_e32 v6, v60, v57
	v_fmac_f32_e32 v60, -0.5, v7
	v_sub_f32_e32 v5, v56, v5
	v_mov_b32_e32 v7, v60
	v_add_f32_e32 v6, v6, v58
	v_fmac_f32_e32 v7, 0xbf5db3d7, v5
	ds_write_b32 v69, v59 offset:24
	ds_write2_b32 v70, v6, v7 offset1:3
	v_add_f32_e32 v6, v19, v21
	v_fmac_f32_e32 v60, 0x3f5db3d7, v5
	v_add_f32_e32 v5, v76, v19
	v_fmac_f32_e32 v76, -0.5, v6
	v_sub_f32_e32 v6, v75, v18
	v_mov_b32_e32 v7, v76
	v_add_f32_e32 v5, v5, v21
	v_fmac_f32_e32 v7, 0xbf5db3d7, v6
	ds_write_b32 v70, v60 offset:24
	ds_write2_b32 v71, v5, v7 offset1:3
	v_mov_b32_e32 v5, 57
	v_mul_lo_u16_sdwa v5, v32, v5 dst_sel:DWORD dst_unused:UNUSED_PAD src0_sel:BYTE_0 src1_sel:DWORD
	v_lshrrev_b16_e32 v11, 9, v5
	v_mul_lo_u16_e32 v5, 9, v11
	v_sub_u16_e32 v25, v32, v5
	v_mov_b32_e32 v18, 5
	v_fmac_f32_e32 v76, 0x3f5db3d7, v6
	v_lshlrev_b32_sdwa v27, v18, v25 dst_sel:DWORD dst_unused:UNUSED_PAD src0_sel:DWORD src1_sel:BYTE_0
	ds_write_b32 v71, v76 offset:24
	s_waitcnt lgkmcnt(0)
	s_barrier
	global_load_dwordx4 v[5:8], v27, s[8:9] offset:48
	v_mul_u32_u24_sdwa v19, v33, s0 dst_sel:DWORD dst_unused:UNUSED_PAD src0_sel:WORD_0 src1_sel:DWORD
	v_lshrrev_b32_e32 v72, 19, v19
	v_mul_lo_u16_e32 v19, 9, v72
	v_sub_u16_e32 v75, v33, v19
	v_lshlrev_b32_e32 v58, 5, v75
	global_load_dwordx4 v[19:22], v58, s[8:9] offset:48
	v_mul_u32_u24_sdwa v50, v34, s0 dst_sel:DWORD dst_unused:UNUSED_PAD src0_sel:WORD_0 src1_sel:DWORD
	v_lshrrev_b32_e32 v76, 19, v50
	v_mul_lo_u16_e32 v50, 9, v76
	v_sub_u16_e32 v77, v34, v50
	v_lshlrev_b32_e32 v70, 5, v77
	global_load_dwordx4 v[50:53], v70, s[8:9] offset:48
	global_load_dwordx4 v[54:57], v27, s[8:9] offset:64
	ds_read_b32 v27, v48
	ds_read_b32 v78, v47
	ds_read2_b32 v[68:69], v17 offset0:42 offset1:177
	global_load_dwordx4 v[58:61], v58, s[8:9] offset:64
	s_movk_i32 s0, 0x6d
	s_waitcnt vmcnt(4) lgkmcnt(2)
	v_mul_f32_e32 v71, v27, v6
	v_fma_f32 v79, v73, v5, -v71
	v_mul_f32_e32 v73, v73, v6
	v_fmac_f32_e32 v73, v27, v5
	s_waitcnt lgkmcnt(0)
	v_mul_f32_e32 v5, v68, v8
	v_mul_f32_e32 v80, v9, v8
	v_fma_f32 v27, v9, v7, -v5
	v_fmac_f32_e32 v80, v68, v7
	global_load_dwordx4 v[5:8], v70, s[8:9] offset:64
	ds_read2_b32 v[70:71], v16 offset0:28 offset1:163
	s_waitcnt vmcnt(4)
	v_mul_f32_e32 v9, v69, v22
	v_fma_f32 v68, v10, v21, -v9
	v_mul_f32_e32 v81, v10, v22
	v_fmac_f32_e32 v81, v69, v21
	s_waitcnt lgkmcnt(0)
	v_mul_f32_e32 v9, v70, v20
	v_fma_f32 v69, v64, v19, -v9
	ds_read2_b32 v[9:10], v15 offset0:56 offset1:191
	v_mul_f32_e32 v64, v64, v20
	v_fmac_f32_e32 v64, v70, v19
	s_waitcnt vmcnt(3)
	v_mul_f32_e32 v19, v71, v51
	v_fma_f32 v70, v65, v50, -v19
	v_mul_f32_e32 v51, v65, v51
	s_waitcnt lgkmcnt(0)
	v_mul_f32_e32 v19, v9, v53
	v_fmac_f32_e32 v51, v71, v50
	v_fma_f32 v50, v23, v52, -v19
	ds_read2_b32 v[19:20], v14 offset0:84 offset1:219
	v_mul_f32_e32 v23, v23, v53
	v_fmac_f32_e32 v23, v9, v52
	s_waitcnt vmcnt(2)
	v_mul_f32_e32 v9, v10, v55
	v_fma_f32 v21, v24, v54, -v9
	v_mul_f32_e32 v24, v24, v55
	s_waitcnt lgkmcnt(0)
	v_mul_f32_e32 v9, v19, v57
	v_fmac_f32_e32 v24, v10, v54
	v_fma_f32 v22, v62, v56, -v9
	ds_read2_b32 v[9:10], v13 offset0:70 offset1:205
	v_mul_f32_e32 v52, v62, v57
	v_fmac_f32_e32 v52, v19, v56
	s_waitcnt vmcnt(1)
	v_mul_f32_e32 v19, v20, v61
	v_mul_f32_e32 v56, v66, v59
	v_fma_f32 v53, v63, v60, -v19
	s_waitcnt lgkmcnt(0)
	v_mul_f32_e32 v19, v9, v59
	v_fmac_f32_e32 v56, v9, v58
	v_fma_f32 v55, v66, v58, -v19
	v_mul_f32_e32 v54, v63, v61
	v_fmac_f32_e32 v54, v20, v60
	v_sub_f32_e32 v66, v79, v22
	s_waitcnt vmcnt(0)
	v_mul_f32_e32 v9, v10, v6
	v_fma_f32 v57, v67, v5, -v9
	ds_read_b32 v9, v26 offset:7560
	v_mul_f32_e32 v58, v67, v6
	v_fmac_f32_e32 v58, v10, v5
	v_mul_f32_e32 v62, v74, v8
	v_sub_f32_e32 v6, v22, v21
	s_waitcnt lgkmcnt(0)
	v_mul_f32_e32 v5, v9, v8
	v_fma_f32 v61, v74, v7, -v5
	v_sub_f32_e32 v5, v79, v27
	v_fmac_f32_e32 v62, v9, v7
	v_add_f32_e32 v5, v5, v6
	v_lshlrev_b32_sdwa v6, v12, v25 dst_sel:DWORD dst_unused:UNUSED_PAD src0_sel:DWORD src1_sel:BYTE_0
	v_mul_u32_u24_e32 v7, 0xb4, v11
	v_add3_u32 v25, 0, v7, v6
	v_add_f32_e32 v7, v27, v21
	v_fma_f32 v7, -0.5, v7, v4
	v_add_f32_e32 v6, v4, v79
	v_sub_f32_e32 v8, v73, v52
	v_mov_b32_e32 v9, v7
	v_add_f32_e32 v6, v6, v27
	v_fmac_f32_e32 v9, 0x3f737871, v8
	v_sub_f32_e32 v10, v80, v24
	v_add_f32_e32 v6, v6, v21
	v_fmac_f32_e32 v9, 0x3f167918, v10
	v_add_f32_e32 v6, v6, v22
	v_fmac_f32_e32 v9, 0x3e9e377a, v5
	ds_read_b32 v59, v46
	ds_read_b32 v60, v26
	s_waitcnt lgkmcnt(0)
	s_barrier
	ds_write2_b32 v25, v6, v9 offset1:9
	v_add_f32_e32 v6, v79, v22
	v_fmac_f32_e32 v4, -0.5, v6
	v_sub_f32_e32 v6, v27, v79
	v_sub_f32_e32 v9, v21, v22
	v_add_f32_e32 v6, v6, v9
	v_mov_b32_e32 v9, v4
	v_fmac_f32_e32 v9, 0xbf737871, v10
	v_fmac_f32_e32 v4, 0x3f737871, v10
	;; [unrolled: 1-line block ×8, first 2 shown]
	ds_write2_b32 v25, v9, v4 offset0:18 offset1:27
	v_fmac_f32_e32 v7, 0x3e9e377a, v5
	v_sub_f32_e32 v4, v69, v68
	v_sub_f32_e32 v5, v53, v55
	v_add_f32_e32 v4, v4, v5
	v_lshlrev_b32_e32 v5, 2, v75
	v_mul_u32_u24_e32 v6, 0xb4, v72
	v_add3_u32 v63, 0, v6, v5
	v_add_f32_e32 v6, v68, v55
	v_fma_f32 v6, -0.5, v6, v3
	ds_write_b32 v25, v7 offset:144
	v_add_f32_e32 v5, v3, v69
	v_sub_f32_e32 v7, v64, v54
	v_mov_b32_e32 v8, v6
	v_add_f32_e32 v5, v5, v68
	v_fmac_f32_e32 v8, 0x3f737871, v7
	v_sub_f32_e32 v9, v81, v56
	v_add_f32_e32 v5, v5, v55
	v_fmac_f32_e32 v8, 0x3f167918, v9
	v_add_f32_e32 v5, v5, v53
	v_fmac_f32_e32 v8, 0x3e9e377a, v4
	ds_write2_b32 v63, v5, v8 offset1:9
	v_add_f32_e32 v5, v69, v53
	v_fmac_f32_e32 v3, -0.5, v5
	v_sub_f32_e32 v5, v68, v69
	v_sub_f32_e32 v8, v55, v53
	v_add_f32_e32 v5, v5, v8
	v_mov_b32_e32 v8, v3
	v_fmac_f32_e32 v8, 0xbf737871, v9
	v_fmac_f32_e32 v3, 0x3f737871, v9
	;; [unrolled: 1-line block ×8, first 2 shown]
	ds_write2_b32 v63, v8, v3 offset0:18 offset1:27
	v_fmac_f32_e32 v6, 0x3e9e377a, v4
	v_sub_f32_e32 v3, v70, v50
	v_sub_f32_e32 v4, v61, v57
	v_add_f32_e32 v3, v3, v4
	v_lshlrev_b32_e32 v4, 2, v77
	v_mul_u32_u24_e32 v5, 0xb4, v76
	v_add3_u32 v65, 0, v5, v4
	v_add_f32_e32 v5, v50, v57
	v_fma_f32 v5, -0.5, v5, v2
	ds_write_b32 v63, v6 offset:144
	v_add_f32_e32 v4, v2, v70
	v_sub_f32_e32 v6, v51, v62
	v_mov_b32_e32 v7, v5
	v_add_f32_e32 v4, v4, v50
	v_fmac_f32_e32 v7, 0x3f737871, v6
	v_sub_f32_e32 v8, v23, v58
	v_add_f32_e32 v4, v4, v57
	v_fmac_f32_e32 v7, 0x3f167918, v8
	v_add_f32_e32 v4, v4, v61
	v_fmac_f32_e32 v7, 0x3e9e377a, v3
	ds_write2_b32 v65, v4, v7 offset1:9
	v_add_f32_e32 v4, v70, v61
	v_fmac_f32_e32 v2, -0.5, v4
	v_sub_f32_e32 v4, v50, v70
	v_sub_f32_e32 v7, v57, v61
	v_add_f32_e32 v4, v4, v7
	v_mov_b32_e32 v7, v2
	v_fmac_f32_e32 v7, 0xbf737871, v8
	v_fmac_f32_e32 v2, 0x3f737871, v8
	;; [unrolled: 1-line block ×6, first 2 shown]
	ds_write2_b32 v65, v7, v2 offset0:18 offset1:27
	v_sub_f32_e32 v2, v73, v80
	v_sub_f32_e32 v4, v52, v24
	v_add_f32_e32 v67, v2, v4
	v_add_f32_e32 v2, v60, v73
	;; [unrolled: 1-line block ×6, first 2 shown]
	v_fma_f32 v72, -0.5, v2, v60
	v_mov_b32_e32 v74, v72
	v_sub_f32_e32 v27, v27, v21
	v_fmac_f32_e32 v5, 0xbf737871, v6
	v_fmac_f32_e32 v74, 0xbf737871, v66
	;; [unrolled: 1-line block ×6, first 2 shown]
	ds_write_b32 v65, v5 offset:144
	s_waitcnt lgkmcnt(0)
	s_barrier
	ds_read_b32 v21, v26
	ds_read_b32 v75, v48
	;; [unrolled: 1-line block ×4, first 2 shown]
	ds_read_b32 v22, v26 offset:7560
	ds_read2_b32 v[10:11], v17 offset0:42 offset1:177
	ds_read2_b32 v[6:7], v15 offset0:56 offset1:191
	;; [unrolled: 1-line block ×5, first 2 shown]
	s_waitcnt lgkmcnt(0)
	s_barrier
	ds_write2_b32 v25, v71, v74 offset1:9
	v_add_f32_e32 v71, v73, v52
	v_fmac_f32_e32 v60, -0.5, v71
	v_sub_f32_e32 v24, v24, v52
	v_mov_b32_e32 v52, v60
	v_sub_f32_e32 v71, v80, v73
	v_fmac_f32_e32 v52, 0x3f737871, v27
	v_fmac_f32_e32 v60, 0xbf737871, v27
	v_add_f32_e32 v24, v71, v24
	v_fmac_f32_e32 v52, 0xbf167918, v66
	v_fmac_f32_e32 v60, 0x3f167918, v66
	;; [unrolled: 1-line block ×6, first 2 shown]
	v_sub_f32_e32 v24, v69, v53
	v_add_f32_e32 v53, v81, v56
	ds_write2_b32 v25, v52, v60 offset0:18 offset1:27
	v_fmac_f32_e32 v72, 0x3e9e377a, v67
	v_sub_f32_e32 v27, v64, v81
	v_sub_f32_e32 v52, v54, v56
	v_fma_f32 v53, -0.5, v53, v59
	ds_write_b32 v25, v72 offset:144
	v_sub_f32_e32 v25, v68, v55
	v_add_f32_e32 v27, v27, v52
	v_add_f32_e32 v52, v59, v64
	v_mov_b32_e32 v55, v53
	v_add_f32_e32 v52, v52, v81
	v_fmac_f32_e32 v55, 0xbf737871, v24
	v_add_f32_e32 v52, v52, v56
	v_fmac_f32_e32 v55, 0xbf167918, v25
	;; [unrolled: 2-line block ×3, first 2 shown]
	ds_write2_b32 v63, v52, v55 offset1:9
	v_add_f32_e32 v52, v64, v54
	v_fmac_f32_e32 v59, -0.5, v52
	v_sub_f32_e32 v52, v81, v64
	v_sub_f32_e32 v54, v56, v54
	v_add_f32_e32 v52, v52, v54
	v_mov_b32_e32 v54, v59
	v_fmac_f32_e32 v54, 0x3f737871, v25
	v_fmac_f32_e32 v59, 0xbf737871, v25
	;; [unrolled: 1-line block ×8, first 2 shown]
	v_add_f32_e32 v52, v23, v58
	v_fmac_f32_e32 v53, 0x3e9e377a, v27
	v_sub_f32_e32 v25, v50, v57
	v_sub_f32_e32 v27, v51, v23
	;; [unrolled: 1-line block ×3, first 2 shown]
	v_fma_f32 v52, -0.5, v52, v78
	ds_write_b32 v63, v53 offset:144
	v_sub_f32_e32 v24, v70, v61
	v_add_f32_e32 v27, v27, v50
	v_add_f32_e32 v50, v78, v51
	v_mov_b32_e32 v53, v52
	v_add_f32_e32 v50, v50, v23
	v_fmac_f32_e32 v53, 0xbf737871, v24
	v_add_f32_e32 v50, v50, v58
	v_fmac_f32_e32 v53, 0xbf167918, v25
	;; [unrolled: 2-line block ×3, first 2 shown]
	ds_write2_b32 v63, v54, v59 offset0:18 offset1:27
	ds_write2_b32 v65, v50, v53 offset1:9
	v_add_f32_e32 v50, v51, v62
	v_fmac_f32_e32 v78, -0.5, v50
	v_sub_f32_e32 v23, v23, v51
	v_sub_f32_e32 v50, v58, v62
	v_add_f32_e32 v23, v23, v50
	v_mov_b32_e32 v50, v78
	v_fmac_f32_e32 v50, 0x3f737871, v25
	v_fmac_f32_e32 v78, 0xbf737871, v25
	;; [unrolled: 1-line block ×6, first 2 shown]
	v_mul_lo_u16_sdwa v23, v32, s0 dst_sel:DWORD dst_unused:UNUSED_PAD src0_sel:BYTE_0 src1_sel:DWORD
	v_fmac_f32_e32 v52, 0x3f737871, v24
	v_sub_u16_sdwa v24, v32, v23 dst_sel:DWORD dst_unused:UNUSED_PAD src0_sel:DWORD src1_sel:BYTE_1
	v_lshrrev_b16_e32 v24, 1, v24
	v_and_b32_e32 v24, 0x7f, v24
	v_add_u16_sdwa v23, v24, v23 dst_sel:DWORD dst_unused:UNUSED_PAD src0_sel:DWORD src1_sel:BYTE_1
	v_lshrrev_b16_e32 v23, 5, v23
	v_mul_lo_u16_e32 v24, 45, v23
	v_fmac_f32_e32 v52, 0x3f167918, v25
	v_sub_u16_e32 v24, v32, v24
	v_fmac_f32_e32 v52, 0x3e9e377a, v27
	v_lshlrev_b32_sdwa v18, v18, v24 dst_sel:DWORD dst_unused:UNUSED_PAD src0_sel:DWORD src1_sel:BYTE_0
	ds_write2_b32 v65, v50, v78 offset0:18 offset1:27
	ds_write_b32 v65, v52 offset:144
	s_waitcnt lgkmcnt(0)
	s_barrier
	global_load_dwordx4 v[50:53], v18, s[8:9] offset:336
	s_movk_i32 s0, 0x2d83
	v_mul_u32_u24_sdwa v25, v33, s0 dst_sel:DWORD dst_unused:UNUSED_PAD src0_sel:WORD_0 src1_sel:DWORD
	v_lshrrev_b32_e32 v25, 19, v25
	v_mul_lo_u16_e32 v27, 45, v25
	v_sub_u16_e32 v27, v33, v27
	v_lshlrev_b32_e32 v74, 5, v27
	global_load_dwordx4 v[54:57], v74, s[8:9] offset:336
	v_mul_u32_u24_sdwa v58, v34, s0 dst_sel:DWORD dst_unused:UNUSED_PAD src0_sel:WORD_0 src1_sel:DWORD
	v_lshrrev_b32_e32 v76, 19, v58
	v_mul_lo_u16_e32 v58, 45, v76
	v_sub_u16_e32 v77, v34, v58
	v_lshlrev_b32_e32 v78, 5, v77
	global_load_dwordx4 v[58:61], v78, s[8:9] offset:336
	global_load_dwordx4 v[62:65], v18, s[8:9] offset:352
	;; [unrolled: 1-line block ×4, first 2 shown]
	ds_read_b32 v74, v48
	ds_read2_b32 v[17:18], v17 offset0:42 offset1:177
	ds_read_b32 v78, v47
	v_lshlrev_b32_sdwa v12, v12, v24 dst_sel:DWORD dst_unused:UNUSED_PAD src0_sel:DWORD src1_sel:BYTE_0
	v_mul_u32_u24_e32 v23, 0x384, v23
	v_add3_u32 v12, 0, v23, v12
	s_waitcnt vmcnt(5) lgkmcnt(2)
	v_mul_f32_e32 v79, v74, v51
	v_fma_f32 v79, v75, v50, -v79
	v_mul_f32_e32 v75, v75, v51
	v_fmac_f32_e32 v75, v74, v50
	v_mul_f32_e32 v74, v10, v53
	s_waitcnt lgkmcnt(1)
	v_mul_f32_e32 v50, v17, v53
	v_fmac_f32_e32 v74, v17, v52
	ds_read2_b32 v[16:17], v16 offset0:28 offset1:163
	v_fma_f32 v50, v10, v52, -v50
	s_waitcnt vmcnt(4)
	v_mul_f32_e32 v10, v18, v57
	v_fma_f32 v80, v11, v56, -v10
	v_mul_f32_e32 v81, v11, v57
	s_waitcnt lgkmcnt(0)
	v_mul_f32_e32 v10, v16, v55
	v_fmac_f32_e32 v81, v18, v56
	v_fma_f32 v18, v8, v54, -v10
	ds_read2_b32 v[10:11], v15 offset0:56 offset1:191
	v_mul_f32_e32 v82, v8, v55
	s_waitcnt vmcnt(3)
	v_mul_f32_e32 v8, v17, v59
	v_fmac_f32_e32 v82, v16, v54
	v_fma_f32 v15, v9, v58, -v8
	v_mul_f32_e32 v16, v9, v59
	s_waitcnt lgkmcnt(0)
	v_mul_f32_e32 v8, v10, v61
	v_fmac_f32_e32 v16, v17, v58
	v_fma_f32 v17, v6, v60, -v8
	ds_read2_b32 v[8:9], v14 offset0:84 offset1:219
	v_mul_f32_e32 v61, v6, v61
	s_waitcnt vmcnt(2)
	v_mul_f32_e32 v6, v11, v63
	v_fmac_f32_e32 v61, v10, v60
	v_fma_f32 v10, v7, v62, -v6
	v_mul_f32_e32 v14, v7, v63
	s_waitcnt lgkmcnt(0)
	v_mul_f32_e32 v6, v8, v65
	v_fmac_f32_e32 v14, v11, v62
	v_fma_f32 v11, v4, v64, -v6
	ds_read2_b32 v[6:7], v13 offset0:70 offset1:205
	ds_read_b32 v13, v26 offset:7560
	v_mul_f32_e32 v4, v4, v65
	v_sub_f32_e32 v24, v11, v10
	v_fmac_f32_e32 v4, v8, v64
	s_waitcnt vmcnt(1)
	v_mul_f32_e32 v8, v9, v69
	s_waitcnt vmcnt(0) lgkmcnt(0)
	v_mul_f32_e32 v51, v13, v73
	v_fma_f32 v62, v22, v72, -v51
	v_mul_f32_e32 v22, v22, v73
	v_fmac_f32_e32 v22, v13, v72
	v_sub_f32_e32 v13, v79, v50
	v_add_f32_e32 v13, v13, v24
	v_add_f32_e32 v24, v50, v10
	v_fma_f32 v8, v5, v68, -v8
	v_mul_f32_e32 v5, v5, v69
	v_fma_f32 v24, -0.5, v24, v21
	v_fmac_f32_e32 v5, v9, v68
	v_mul_f32_e32 v9, v6, v67
	v_add_f32_e32 v23, v21, v79
	v_sub_f32_e32 v51, v75, v4
	v_mov_b32_e32 v52, v24
	v_fma_f32 v9, v2, v66, -v9
	v_mul_f32_e32 v2, v2, v67
	v_add_f32_e32 v23, v23, v50
	v_fmac_f32_e32 v52, 0x3f737871, v51
	v_sub_f32_e32 v53, v74, v14
	v_fmac_f32_e32 v2, v6, v66
	v_mul_f32_e32 v6, v7, v71
	v_add_f32_e32 v23, v23, v10
	v_fmac_f32_e32 v52, 0x3f167918, v53
	v_fma_f32 v6, v3, v70, -v6
	v_mul_f32_e32 v3, v3, v71
	v_add_f32_e32 v23, v23, v11
	v_fmac_f32_e32 v52, 0x3e9e377a, v13
	v_fmac_f32_e32 v3, v7, v70
	ds_read_b32 v7, v46
	ds_read_b32 v60, v26
	s_waitcnt lgkmcnt(0)
	s_barrier
	ds_write2_b32 v12, v23, v52 offset1:45
	v_add_f32_e32 v23, v79, v11
	v_fmac_f32_e32 v21, -0.5, v23
	v_sub_f32_e32 v23, v50, v79
	v_sub_f32_e32 v52, v10, v11
	v_add_f32_e32 v23, v23, v52
	v_mov_b32_e32 v52, v21
	v_fmac_f32_e32 v52, 0xbf737871, v53
	v_fmac_f32_e32 v21, 0x3f737871, v53
	;; [unrolled: 1-line block ×9, first 2 shown]
	ds_write2_b32 v12, v52, v21 offset0:90 offset1:135
	v_sub_f32_e32 v13, v18, v80
	v_sub_f32_e32 v21, v8, v9
	ds_write_b32 v12, v24 offset:720
	v_add_f32_e32 v24, v80, v9
	v_add_f32_e32 v13, v13, v21
	v_lshlrev_b32_e32 v21, 2, v27
	v_mul_u32_u24_e32 v23, 0x384, v25
	v_fma_f32 v24, -0.5, v24, v20
	v_add3_u32 v21, 0, v23, v21
	v_add_f32_e32 v23, v20, v18
	v_sub_f32_e32 v25, v82, v5
	v_mov_b32_e32 v27, v24
	v_add_f32_e32 v23, v23, v80
	v_fmac_f32_e32 v27, 0x3f737871, v25
	v_sub_f32_e32 v51, v81, v2
	v_add_f32_e32 v23, v23, v9
	v_fmac_f32_e32 v27, 0x3f167918, v51
	v_add_f32_e32 v23, v23, v8
	v_fmac_f32_e32 v27, 0x3e9e377a, v13
	ds_write2_b32 v21, v23, v27 offset1:45
	v_add_f32_e32 v23, v18, v8
	v_fmac_f32_e32 v20, -0.5, v23
	v_sub_f32_e32 v23, v80, v18
	v_sub_f32_e32 v27, v9, v8
	v_add_f32_e32 v23, v23, v27
	v_mov_b32_e32 v27, v20
	v_fmac_f32_e32 v27, 0xbf737871, v51
	v_fmac_f32_e32 v20, 0x3f737871, v51
	;; [unrolled: 1-line block ×9, first 2 shown]
	ds_write2_b32 v21, v27, v20 offset0:90 offset1:135
	v_sub_f32_e32 v13, v15, v17
	v_sub_f32_e32 v20, v62, v6
	ds_write_b32 v21, v24 offset:720
	v_add_f32_e32 v24, v17, v6
	v_add_f32_e32 v13, v13, v20
	v_lshlrev_b32_e32 v20, 2, v77
	v_mul_u32_u24_e32 v23, 0x384, v76
	v_fma_f32 v24, -0.5, v24, v19
	v_add3_u32 v20, 0, v23, v20
	v_add_f32_e32 v23, v19, v15
	v_sub_f32_e32 v25, v16, v22
	v_mov_b32_e32 v27, v24
	v_add_f32_e32 v23, v23, v17
	v_fmac_f32_e32 v27, 0x3f737871, v25
	v_sub_f32_e32 v51, v61, v3
	v_add_f32_e32 v23, v23, v6
	v_fmac_f32_e32 v27, 0x3f167918, v51
	v_add_f32_e32 v23, v23, v62
	v_fmac_f32_e32 v27, 0x3e9e377a, v13
	ds_write2_b32 v20, v23, v27 offset1:45
	v_add_f32_e32 v23, v15, v62
	v_fmac_f32_e32 v19, -0.5, v23
	v_sub_f32_e32 v23, v17, v15
	v_sub_f32_e32 v27, v6, v62
	v_add_f32_e32 v23, v23, v27
	v_mov_b32_e32 v27, v19
	v_fmac_f32_e32 v27, 0xbf737871, v51
	v_fmac_f32_e32 v19, 0x3f737871, v51
	;; [unrolled: 1-line block ×6, first 2 shown]
	ds_write2_b32 v20, v27, v19 offset0:90 offset1:135
	v_sub_f32_e32 v19, v75, v74
	v_sub_f32_e32 v23, v4, v14
	v_fmac_f32_e32 v24, 0xbf737871, v25
	v_add_f32_e32 v19, v19, v23
	v_fmac_f32_e32 v24, 0xbf167918, v51
	v_add_f32_e32 v23, v74, v14
	v_fmac_f32_e32 v24, 0x3e9e377a, v13
	v_fma_f32 v23, -0.5, v23, v60
	v_sub_f32_e32 v11, v79, v11
	ds_write_b32 v20, v24 offset:720
	v_add_f32_e32 v13, v60, v75
	v_mov_b32_e32 v24, v23
	v_sub_f32_e32 v10, v50, v10
	v_add_f32_e32 v13, v13, v74
	v_fmac_f32_e32 v24, 0xbf737871, v11
	v_add_f32_e32 v13, v13, v14
	v_fmac_f32_e32 v24, 0xbf167918, v10
	;; [unrolled: 2-line block ×3, first 2 shown]
	s_waitcnt lgkmcnt(0)
	s_barrier
	ds_read_b32 v27, v26
	ds_read_b32 v64, v46
	;; [unrolled: 1-line block ×5, first 2 shown]
	ds_read2_b32 v[50:51], v29 offset0:35 offset1:170
	ds_read2_b32 v[52:53], v39 offset0:63 offset1:198
	;; [unrolled: 1-line block ×5, first 2 shown]
	s_waitcnt lgkmcnt(0)
	s_barrier
	ds_write2_b32 v12, v13, v24 offset1:45
	v_add_f32_e32 v13, v75, v4
	v_fmac_f32_e32 v60, -0.5, v13
	v_sub_f32_e32 v13, v74, v75
	v_sub_f32_e32 v4, v14, v4
	v_add_f32_e32 v4, v13, v4
	v_mov_b32_e32 v13, v60
	v_fmac_f32_e32 v13, 0x3f737871, v10
	v_fmac_f32_e32 v60, 0xbf737871, v10
	;; [unrolled: 1-line block ×6, first 2 shown]
	v_add_f32_e32 v11, v81, v2
	v_fmac_f32_e32 v13, 0x3e9e377a, v4
	v_fmac_f32_e32 v60, 0x3e9e377a, v4
	;; [unrolled: 1-line block ×3, first 2 shown]
	v_sub_f32_e32 v4, v18, v8
	v_sub_f32_e32 v8, v80, v9
	;; [unrolled: 1-line block ×4, first 2 shown]
	v_fma_f32 v11, -0.5, v11, v7
	ds_write2_b32 v12, v13, v60 offset0:90 offset1:135
	ds_write_b32 v12, v23 offset:720
	v_add_f32_e32 v9, v9, v10
	v_add_f32_e32 v10, v7, v82
	v_mov_b32_e32 v12, v11
	v_add_f32_e32 v10, v10, v81
	v_fmac_f32_e32 v12, 0xbf737871, v4
	v_add_f32_e32 v10, v10, v2
	v_fmac_f32_e32 v12, 0xbf167918, v8
	;; [unrolled: 2-line block ×3, first 2 shown]
	ds_write2_b32 v21, v10, v12 offset1:45
	v_add_f32_e32 v10, v82, v5
	v_fmac_f32_e32 v7, -0.5, v10
	v_sub_f32_e32 v2, v2, v5
	v_mov_b32_e32 v5, v7
	v_sub_f32_e32 v10, v81, v82
	v_fmac_f32_e32 v5, 0x3f737871, v8
	v_fmac_f32_e32 v7, 0xbf737871, v8
	v_add_f32_e32 v2, v10, v2
	v_fmac_f32_e32 v5, 0xbf167918, v4
	v_fmac_f32_e32 v7, 0x3f167918, v4
	;; [unrolled: 1-line block ×4, first 2 shown]
	ds_write2_b32 v21, v5, v7 offset0:90 offset1:135
	v_fmac_f32_e32 v11, 0x3f737871, v4
	v_sub_f32_e32 v4, v17, v6
	v_sub_f32_e32 v5, v16, v61
	;; [unrolled: 1-line block ×3, first 2 shown]
	v_add_f32_e32 v5, v5, v6
	v_add_f32_e32 v6, v61, v3
	v_fma_f32 v6, -0.5, v6, v78
	v_sub_f32_e32 v2, v15, v62
	v_mov_b32_e32 v7, v6
	v_fmac_f32_e32 v7, 0xbf737871, v2
	v_fmac_f32_e32 v6, 0x3f737871, v2
	;; [unrolled: 1-line block ×6, first 2 shown]
	v_add_f32_e32 v5, v78, v16
	v_fmac_f32_e32 v11, 0x3f167918, v8
	v_add_f32_e32 v8, v16, v22
	v_add_f32_e32 v5, v5, v61
	v_fmac_f32_e32 v78, -0.5, v8
	v_sub_f32_e32 v8, v61, v16
	v_add_f32_e32 v5, v5, v3
	v_sub_f32_e32 v3, v3, v22
	v_add_f32_e32 v3, v8, v3
	v_mov_b32_e32 v8, v78
	v_fmac_f32_e32 v8, 0x3f737871, v4
	v_fmac_f32_e32 v78, 0xbf737871, v4
	;; [unrolled: 1-line block ×5, first 2 shown]
	v_add_f32_e32 v5, v5, v22
	v_fmac_f32_e32 v8, 0x3e9e377a, v3
	v_fmac_f32_e32 v78, 0x3e9e377a, v3
	v_lshlrev_b32_e32 v2, 1, v32
	v_mov_b32_e32 v3, 0
	ds_write_b32 v21, v11 offset:720
	ds_write2_b32 v20, v5, v7 offset1:45
	ds_write2_b32 v20, v8, v78 offset0:90 offset1:135
	ds_write_b32 v20, v6 offset:720
	v_lshlrev_b64 v[4:5], 3, v[2:3]
	v_mov_b32_e32 v16, s9
	v_add_co_u32_e64 v4, s[0:1], s8, v4
	v_addc_co_u32_e64 v5, s[0:1], v16, v5, s[0:1]
	s_movk_i32 s0, 0x5a
	s_waitcnt lgkmcnt(0)
	s_barrier
	global_load_dwordx4 v[6:9], v[4:5], off offset:1776
	v_add_u32_e32 v10, 0xffffffa6, v32
	v_cmp_gt_u32_e64 s[0:1], s0, v32
	v_cndmask_b32_e64 v68, v10, v33, s[0:1]
	v_lshlrev_b32_e32 v10, 1, v68
	v_mov_b32_e32 v11, v3
	v_lshlrev_b64 v[10:11], 3, v[10:11]
	v_add_u32_e32 v2, 0x5a, v2
	v_add_co_u32_e64 v10, s[0:1], s8, v10
	v_addc_co_u32_e64 v11, s[0:1], v16, v11, s[0:1]
	global_load_dwordx4 v[10:13], v[10:11], off offset:1776
	v_lshlrev_b64 v[14:15], 3, v[2:3]
	v_add_co_u32_e64 v14, s[0:1], s8, v14
	v_addc_co_u32_e64 v15, s[0:1], v16, v15, s[0:1]
	global_load_dwordx4 v[14:17], v[14:15], off offset:1776
	s_mov_b32 s0, 0x91a3
	v_mul_u32_u24_sdwa v2, v35, s0 dst_sel:DWORD dst_unused:UNUSED_PAD src0_sel:WORD_0 src1_sel:DWORD
	v_lshrrev_b32_e32 v2, 23, v2
	v_mul_lo_u16_e32 v18, 0xe1, v2
	v_mul_u32_u24_sdwa v22, v36, s0 dst_sel:DWORD dst_unused:UNUSED_PAD src0_sel:WORD_0 src1_sel:DWORD
	v_sub_u16_e32 v69, v35, v18
	v_lshrrev_b32_e32 v22, 23, v22
	v_lshlrev_b32_e32 v18, 4, v69
	v_mul_lo_u16_e32 v22, 0xe1, v22
	global_load_dwordx4 v[18:21], v18, s[8:9] offset:1776
	v_sub_u16_e32 v70, v36, v22
	v_lshlrev_b32_e32 v22, 4, v70
	global_load_dwordx4 v[22:25], v22, s[8:9] offset:1776
	ds_read2_b32 v[60:61], v29 offset0:35 offset1:170
	ds_read2_b32 v[62:63], v39 offset0:63 offset1:198
	s_movk_i32 s0, 0x59
	v_cmp_lt_u32_e64 s[0:1], s0, v32
	v_mul_u32_u24_e32 v2, 0xa8c, v2
	s_waitcnt vmcnt(4) lgkmcnt(1)
	v_mul_f32_e32 v71, v60, v7
	v_fma_f32 v71, v50, v6, -v71
	v_mul_f32_e32 v50, v50, v7
	v_fmac_f32_e32 v50, v60, v6
	s_waitcnt lgkmcnt(0)
	v_mul_f32_e32 v6, v63, v9
	v_fma_f32 v60, v53, v8, -v6
	ds_read2_b32 v[6:7], v31 offset0:77 offset1:212
	v_mul_f32_e32 v53, v53, v9
	v_fmac_f32_e32 v53, v63, v8
	s_waitcnt vmcnt(3)
	v_mul_f32_e32 v8, v61, v11
	v_fma_f32 v63, v51, v10, -v8
	v_mul_f32_e32 v51, v51, v11
	s_waitcnt lgkmcnt(0)
	v_mul_f32_e32 v8, v6, v13
	v_fmac_f32_e32 v51, v61, v10
	v_fma_f32 v61, v54, v12, -v8
	ds_read2_b32 v[8:9], v41 offset0:49 offset1:184
	v_mul_f32_e32 v54, v54, v13
	v_fmac_f32_e32 v54, v6, v12
	s_waitcnt vmcnt(2)
	v_mul_f32_e32 v6, v7, v17
	v_fma_f32 v72, v55, v16, -v6
	v_mul_f32_e32 v55, v55, v17
	s_waitcnt lgkmcnt(0)
	v_mul_f32_e32 v6, v8, v15
	v_fmac_f32_e32 v55, v7, v16
	v_fma_f32 v73, v56, v14, -v6
	ds_read2_b32 v[6:7], v44 offset0:91 offset1:226
	v_mul_f32_e32 v56, v56, v15
	v_fmac_f32_e32 v56, v8, v14
	s_waitcnt vmcnt(1)
	v_mul_f32_e32 v8, v9, v19
	v_fma_f32 v74, v57, v18, -v8
	s_waitcnt lgkmcnt(0)
	v_mul_f32_e32 v8, v6, v21
	v_mul_f32_e32 v21, v58, v21
	v_fmac_f32_e32 v21, v6, v20
	s_waitcnt vmcnt(0)
	v_mul_f32_e32 v6, v62, v23
	v_fma_f32 v75, v58, v20, -v8
	v_fma_f32 v58, v52, v22, -v6
	v_mul_f32_e32 v6, v7, v25
	v_mul_f32_e32 v25, v59, v25
	;; [unrolled: 1-line block ×3, first 2 shown]
	v_fmac_f32_e32 v25, v7, v24
	v_add_f32_e32 v7, v71, v60
	v_fmac_f32_e32 v23, v62, v22
	v_fma_f32 v22, v59, v24, -v6
	v_add_f32_e32 v6, v27, v71
	v_fmac_f32_e32 v27, -0.5, v7
	v_sub_f32_e32 v7, v50, v53
	v_mov_b32_e32 v8, v27
	v_add_f32_e32 v6, v6, v60
	v_fmac_f32_e32 v8, 0x3f5db3d7, v7
	v_fmac_f32_e32 v27, 0xbf5db3d7, v7
	v_add_f32_e32 v7, v63, v61
	ds_read_b32 v24, v26
	ds_read_b32 v52, v46
	;; [unrolled: 1-line block ×5, first 2 shown]
	s_waitcnt lgkmcnt(0)
	s_barrier
	ds_write2_b32 v26, v6, v8 offset1:225
	v_add_f32_e32 v6, v64, v63
	v_fmac_f32_e32 v64, -0.5, v7
	v_mov_b32_e32 v7, 0xa8c
	v_cndmask_b32_e64 v7, 0, v7, s[0:1]
	v_lshlrev_b32_e32 v8, 2, v68
	ds_write_b32 v26, v27 offset:1800
	v_add3_u32 v27, 0, v7, v8
	v_sub_f32_e32 v7, v51, v54
	v_mov_b32_e32 v8, v64
	v_add_f32_e32 v6, v6, v61
	v_fmac_f32_e32 v8, 0x3f5db3d7, v7
	v_fmac_f32_e32 v64, 0xbf5db3d7, v7
	v_add_f32_e32 v7, v73, v72
	ds_write2_b32 v27, v6, v8 offset1:225
	v_add_f32_e32 v6, v65, v73
	v_fmac_f32_e32 v65, -0.5, v7
	ds_write_b32 v27, v64 offset:1800
	v_sub_f32_e32 v7, v56, v55
	v_mov_b32_e32 v8, v65
	v_lshl_add_u32 v64, v32, 2, 0
	v_mul_f32_e32 v57, v57, v19
	v_add_f32_e32 v6, v6, v72
	v_fmac_f32_e32 v8, 0x3f5db3d7, v7
	v_add_u32_e32 v68, 0xb00, v64
	v_fmac_f32_e32 v65, 0xbf5db3d7, v7
	v_add_f32_e32 v7, v74, v75
	v_fmac_f32_e32 v57, v9, v18
	ds_write2_b32 v68, v6, v8 offset0:16 offset1:241
	v_add_f32_e32 v6, v66, v74
	v_fmac_f32_e32 v66, -0.5, v7
	v_lshlrev_b32_e32 v7, 2, v69
	v_add3_u32 v2, 0, v2, v7
	v_sub_f32_e32 v7, v57, v21
	v_mov_b32_e32 v8, v66
	v_add_f32_e32 v6, v6, v75
	v_fmac_f32_e32 v8, 0x3f5db3d7, v7
	v_fmac_f32_e32 v66, 0xbf5db3d7, v7
	v_add_f32_e32 v7, v58, v22
	ds_write_b32 v64, v65 offset:4680
	ds_write2_b32 v2, v6, v8 offset1:225
	v_add_f32_e32 v6, v67, v58
	v_fmac_f32_e32 v67, -0.5, v7
	v_sub_f32_e32 v7, v23, v25
	v_mov_b32_e32 v8, v67
	v_lshl_add_u32 v65, v70, 2, 0
	ds_write_b32 v2, v66 offset:1800
	v_add_f32_e32 v6, v6, v22
	v_fmac_f32_e32 v8, 0x3f5db3d7, v7
	v_add_u32_e32 v66, 0x1500, v65
	ds_write2_b32 v66, v6, v8 offset0:6 offset1:231
	v_add_f32_e32 v6, v24, v50
	v_add_f32_e32 v69, v6, v53
	;; [unrolled: 1-line block ×3, first 2 shown]
	v_fmac_f32_e32 v67, 0xbf5db3d7, v7
	v_fmac_f32_e32 v24, -0.5, v6
	v_sub_f32_e32 v50, v71, v60
	ds_write_b32 v65, v67 offset:7200
	s_waitcnt lgkmcnt(0)
	s_barrier
	ds_read_b32 v18, v47
	ds_read_b32 v19, v48
	ds_read_b32 v20, v49
	ds_read_b32 v17, v46
	ds_read_b32 v16, v26
	ds_read2_b32 v[8:9], v29 offset0:35 offset1:170
	ds_read2_b32 v[6:7], v39 offset0:63 offset1:198
	;; [unrolled: 1-line block ×5, first 2 shown]
	v_add_f32_e32 v47, v51, v54
	v_mov_b32_e32 v53, v24
	v_fmac_f32_e32 v24, 0x3f5db3d7, v50
	v_add_f32_e32 v46, v52, v51
	v_fmac_f32_e32 v52, -0.5, v47
	s_waitcnt lgkmcnt(0)
	s_barrier
	v_sub_f32_e32 v47, v63, v61
	ds_write_b32 v26, v24 offset:1800
	v_mov_b32_e32 v24, v52
	v_fmac_f32_e32 v53, 0xbf5db3d7, v50
	v_add_f32_e32 v46, v46, v54
	v_fmac_f32_e32 v24, 0xbf5db3d7, v47
	v_fmac_f32_e32 v52, 0x3f5db3d7, v47
	ds_write2_b32 v26, v69, v53 offset1:225
	ds_write2_b32 v27, v46, v24 offset1:225
	ds_write_b32 v27, v52 offset:1800
	v_add_f32_e32 v27, v56, v55
	v_add_f32_e32 v24, v59, v56
	v_fmac_f32_e32 v59, -0.5, v27
	v_sub_f32_e32 v27, v73, v72
	v_mov_b32_e32 v46, v59
	v_add_f32_e32 v24, v24, v55
	v_fmac_f32_e32 v46, 0xbf5db3d7, v27
	ds_write2_b32 v68, v24, v46 offset0:16 offset1:241
	v_add_f32_e32 v24, v62, v57
	v_add_f32_e32 v24, v24, v21
	;; [unrolled: 1-line block ×3, first 2 shown]
	v_fmac_f32_e32 v62, -0.5, v21
	v_fmac_f32_e32 v59, 0x3f5db3d7, v27
	v_sub_f32_e32 v21, v74, v75
	v_mov_b32_e32 v27, v62
	v_fmac_f32_e32 v27, 0xbf5db3d7, v21
	v_fmac_f32_e32 v62, 0x3f5db3d7, v21
	v_add_f32_e32 v21, v23, v25
	ds_write_b32 v64, v59 offset:4680
	ds_write2_b32 v2, v24, v27 offset1:225
	ds_write_b32 v2, v62 offset:1800
	v_add_f32_e32 v2, v76, v23
	v_fmac_f32_e32 v76, -0.5, v21
	v_sub_f32_e32 v21, v58, v22
	v_mov_b32_e32 v22, v76
	v_add_f32_e32 v2, v2, v25
	s_movk_i32 s0, 0x1000
	v_fmac_f32_e32 v22, 0xbf5db3d7, v21
	v_fmac_f32_e32 v76, 0x3f5db3d7, v21
	ds_write2_b32 v66, v2, v22 offset0:6 offset1:231
	ds_write_b32 v65, v76 offset:7200
	s_waitcnt lgkmcnt(0)
	s_barrier
	s_and_saveexec_b64 s[4:5], vcc
	s_cbranch_execz .LBB0_15
; %bb.14:
	v_lshlrev_b32_e32 v2, 1, v36
	v_lshlrev_b64 v[21:22], 3, v[2:3]
	v_mov_b32_e32 v25, s9
	v_add_co_u32_e32 v2, vcc, s8, v21
	v_addc_co_u32_e32 v22, vcc, v25, v22, vcc
	v_add_co_u32_e32 v21, vcc, 0x1000, v2
	v_lshlrev_b32_e32 v2, 1, v35
	v_lshlrev_b64 v[35:36], 3, v[2:3]
	v_addc_co_u32_e32 v22, vcc, 0, v22, vcc
	v_add_co_u32_e32 v2, vcc, s8, v35
	v_addc_co_u32_e32 v27, vcc, v25, v36, vcc
	v_add_co_u32_e32 v35, vcc, s0, v2
	global_load_dwordx4 v[21:24], v[21:22], off offset:1280
	v_addc_co_u32_e32 v36, vcc, 0, v27, vcc
	global_load_dwordx4 v[46:49], v[35:36], off offset:1280
	v_lshlrev_b32_e32 v2, 1, v34
	v_lshlrev_b64 v[34:35], 3, v[2:3]
	v_sub_u32_e32 v56, 0, v42
	v_add_co_u32_e32 v2, vcc, s8, v34
	v_addc_co_u32_e32 v27, vcc, v25, v35, vcc
	v_add_co_u32_e32 v34, vcc, s0, v2
	v_addc_co_u32_e32 v35, vcc, 0, v27, vcc
	global_load_dwordx4 v[50:53], v[34:35], off offset:1280
	v_sub_u32_e32 v2, 0, v43
	v_add_u32_e32 v57, v37, v2
	v_lshlrev_b32_e32 v2, 1, v33
	v_add_co_u32_e32 v54, vcc, s0, v4
	v_lshlrev_b64 v[2:3], 3, v[2:3]
	v_addc_co_u32_e32 v55, vcc, 0, v5, vcc
	v_add_co_u32_e32 v2, vcc, s8, v2
	v_addc_co_u32_e32 v3, vcc, v25, v3, vcc
	v_sub_u32_e32 v34, 0, v45
	v_add_co_u32_e32 v37, vcc, s0, v2
	v_sub_u32_e32 v27, 0, v40
	ds_read2_b32 v[39:40], v39 offset0:63 offset1:198
	ds_read2_b32 v[42:43], v44 offset0:91 offset1:226
	;; [unrolled: 1-line block ×3, first 2 shown]
	v_add_u32_e32 v41, v38, v34
	v_addc_co_u32_e32 v38, vcc, 0, v3, vcc
	global_load_dwordx4 v[2:5], v[37:38], off offset:1280
	global_load_dwordx4 v[33:36], v[54:55], off offset:1280
	ds_read_b32 v25, v41
	ds_read_b32 v37, v57
	v_add_u32_e32 v30, v30, v56
	ds_read_b32 v30, v30
	v_add_u32_e32 v27, v28, v27
	ds_read_b32 v27, v27
	s_mov_b32 s5, 0xc22e4507
	s_movk_i32 s4, 0x546
	s_waitcnt vmcnt(4) lgkmcnt(6)
	v_mul_f32_e32 v38, v39, v22
	s_waitcnt lgkmcnt(5)
	v_mul_f32_e32 v41, v43, v24
	v_mul_f32_e32 v22, v6, v22
	;; [unrolled: 1-line block ×3, first 2 shown]
	s_waitcnt vmcnt(3) lgkmcnt(4)
	v_mul_f32_e32 v54, v45, v47
	v_fma_f32 v6, v6, v21, -v38
	v_fma_f32 v15, v15, v23, -v41
	v_fmac_f32_e32 v22, v21, v39
	v_fmac_f32_e32 v24, v23, v43
	v_mul_f32_e32 v47, v13, v47
	v_fma_f32 v39, v13, v46, -v54
	v_sub_f32_e32 v13, v6, v15
	v_add_f32_e32 v21, v22, v24
	v_add_f32_e32 v38, v6, v15
	;; [unrolled: 1-line block ×3, first 2 shown]
	s_waitcnt lgkmcnt(3)
	v_add_f32_e32 v23, v22, v25
	v_sub_f32_e32 v43, v22, v24
	v_fma_f32 v21, -0.5, v21, v25
	v_add_f32_e32 v22, v6, v15
	v_mul_f32_e32 v6, v14, v49
	v_mov_b32_e32 v25, v21
	v_fmac_f32_e32 v47, v46, v45
	v_fmac_f32_e32 v6, v48, v42
	v_mul_f32_e32 v55, v42, v49
	v_fmac_f32_e32 v21, 0xbf5db3d7, v13
	v_fmac_f32_e32 v25, 0x3f5db3d7, v13
	v_add_f32_e32 v13, v47, v6
	v_fma_f32 v41, v14, v48, -v55
	s_waitcnt lgkmcnt(2)
	v_fma_f32 v14, -0.5, v13, v37
	v_add_f32_e32 v13, v47, v37
	ds_read2_b32 v[45:46], v31 offset0:77 offset1:212
	v_add_f32_e32 v42, v6, v13
	v_add_f32_e32 v13, v39, v41
	v_fma_f32 v20, -0.5, v38, v20
	v_fma_f32 v13, -0.5, v13, v19
	v_add_f32_e32 v23, v24, v23
	v_mov_b32_e32 v24, v20
	v_sub_f32_e32 v6, v47, v6
	v_mov_b32_e32 v37, v13
	v_sub_f32_e32 v54, v39, v41
	v_fmac_f32_e32 v20, 0x3f5db3d7, v43
	v_fmac_f32_e32 v24, 0xbf5db3d7, v43
	;; [unrolled: 1-line block ×4, first 2 shown]
	v_add_f32_e32 v6, v19, v39
	s_waitcnt vmcnt(2)
	v_mul_f32_e32 v39, v12, v51
	v_mul_f32_e32 v43, v11, v53
	s_waitcnt lgkmcnt(0)
	v_mul_f32_e32 v15, v46, v53
	v_fmac_f32_e32 v39, v50, v44
	v_fmac_f32_e32 v43, v52, v46
	v_add_f32_e32 v41, v6, v41
	v_mul_f32_e32 v6, v44, v51
	v_fma_f32 v15, v11, v52, -v15
	v_add_f32_e32 v11, v39, v43
	v_fma_f32 v6, v12, v50, -v6
	v_fma_f32 v12, -0.5, v11, v30
	v_sub_f32_e32 v19, v6, v15
	v_mov_b32_e32 v31, v12
	v_add_f32_e32 v11, v39, v30
	v_fmac_f32_e32 v31, 0x3f5db3d7, v19
	v_fmac_f32_e32 v12, 0xbf5db3d7, v19
	v_add_f32_e32 v19, v43, v11
	v_sub_f32_e32 v39, v39, v43
	ds_read2_b32 v[43:44], v29 offset0:35 offset1:170
	v_add_f32_e32 v11, v6, v15
	v_add_f32_e32 v6, v18, v6
	v_fma_f32 v11, -0.5, v11, v18
	v_add_f32_e32 v18, v6, v15
	s_waitcnt vmcnt(1) lgkmcnt(0)
	v_mul_f32_e32 v6, v44, v3
	v_fma_f32 v6, v9, v2, -v6
	v_mul_f32_e32 v9, v9, v3
	v_mul_f32_e32 v28, v10, v5
	v_fmac_f32_e32 v9, v2, v44
	v_fmac_f32_e32 v28, v4, v45
	v_mul_f32_e32 v15, v45, v5
	v_add_f32_e32 v2, v9, v28
	v_fma_f32 v15, v10, v4, -v15
	v_fma_f32 v3, -0.5, v2, v27
	v_add_f32_e32 v2, v9, v27
	v_add_f32_e32 v10, v28, v2
	;; [unrolled: 1-line block ×3, first 2 shown]
	v_fma_f32 v2, -0.5, v2, v17
	v_sub_f32_e32 v29, v6, v15
	v_sub_f32_e32 v9, v9, v28
	v_mov_b32_e32 v4, v2
	v_add_f32_e32 v6, v17, v6
	ds_read_b32 v17, v26
	v_fmac_f32_e32 v4, 0xbf5db3d7, v9
	v_fmac_f32_e32 v2, 0x3f5db3d7, v9
	v_add_f32_e32 v9, v6, v15
	s_waitcnt vmcnt(0)
	v_mul_f32_e32 v6, v43, v34
	v_mov_b32_e32 v5, v3
	v_fma_f32 v15, v8, v33, -v6
	v_mul_f32_e32 v8, v8, v34
	v_mul_f32_e32 v26, v7, v36
	v_mov_b32_e32 v30, v11
	v_fmac_f32_e32 v5, 0x3f5db3d7, v29
	v_fmac_f32_e32 v3, 0xbf5db3d7, v29
	v_mul_f32_e32 v6, v40, v36
	v_fmac_f32_e32 v8, v33, v43
	v_fmac_f32_e32 v26, v35, v40
	v_mad_u64_u32 v[28:29], s[0:1], s2, v32, 0
	v_fmac_f32_e32 v30, 0xbf5db3d7, v39
	v_fmac_f32_e32 v11, 0x3f5db3d7, v39
	v_fma_f32 v39, v7, v35, -v6
	v_add_f32_e32 v7, v8, v26
	s_waitcnt lgkmcnt(0)
	v_fma_f32 v7, -0.5, v7, v17
	v_sub_f32_e32 v6, v15, v39
	v_mov_b32_e32 v27, v7
	v_fmac_f32_e32 v27, 0x3f5db3d7, v6
	v_fmac_f32_e32 v7, 0xbf5db3d7, v6
	v_add_f32_e32 v6, v8, v17
	v_sub_f32_e32 v35, v8, v26
	v_mov_b32_e32 v8, v29
	v_mad_u64_u32 v[33:34], s[0:1], s3, v32, v[8:9]
	v_add_f32_e32 v17, v26, v6
	v_add_f32_e32 v6, v15, v39
	;; [unrolled: 1-line block ×3, first 2 shown]
	v_fma_f32 v6, -0.5, v6, v16
	v_add_f32_e32 v16, v8, v39
	v_mov_b32_e32 v29, v33
	v_mov_b32_e32 v8, s13
	v_add_co_u32_e32 v36, vcc, s12, v0
	v_add_u32_e32 v15, 0x2a3, v32
	v_addc_co_u32_e32 v39, vcc, v8, v1, vcc
	v_lshlrev_b64 v[0:1], 3, v[28:29]
	v_mad_u64_u32 v[28:29], s[0:1], s2, v15, 0
	v_mov_b32_e32 v26, v6
	v_fmac_f32_e32 v26, 0xbf5db3d7, v35
	v_mov_b32_e32 v8, v29
	v_mad_u64_u32 v[33:34], s[0:1], s3, v15, v[8:9]
	v_add_u32_e32 v15, 0x546, v32
	v_fmac_f32_e32 v6, 0x3f5db3d7, v35
	v_add_co_u32_e32 v0, vcc, v36, v0
	v_mad_u64_u32 v[34:35], s[0:1], s2, v15, 0
	v_addc_co_u32_e32 v1, vcc, v39, v1, vcc
	v_mov_b32_e32 v29, v33
	global_store_dwordx2 v[0:1], v[16:17], off
	v_lshlrev_b64 v[0:1], 3, v[28:29]
	v_mov_b32_e32 v8, v35
	v_add_co_u32_e32 v0, vcc, v36, v0
	v_mad_u64_u32 v[15:16], s[0:1], s3, v15, v[8:9]
	v_addc_co_u32_e32 v1, vcc, v39, v1, vcc
	v_add_u32_e32 v8, 0x87, v32
	global_store_dwordx2 v[0:1], v[6:7], off
	v_mad_u64_u32 v[6:7], s[0:1], s2, v8, 0
	v_mov_b32_e32 v35, v15
	v_lshlrev_b64 v[0:1], 3, v[34:35]
	v_mad_u64_u32 v[7:8], s[0:1], s3, v8, v[7:8]
	v_add_u32_e32 v8, 0x32a, v32
	v_mad_u64_u32 v[15:16], s[0:1], s2, v8, 0
	v_add_co_u32_e32 v0, vcc, v36, v0
	v_addc_co_u32_e32 v1, vcc, v39, v1, vcc
	global_store_dwordx2 v[0:1], v[26:27], off
	v_lshlrev_b64 v[0:1], 3, v[6:7]
	v_mov_b32_e32 v6, v16
	v_mad_u64_u32 v[6:7], s[0:1], s3, v8, v[6:7]
	v_add_u32_e32 v8, 0x5cd, v32
	v_add_co_u32_e32 v0, vcc, v36, v0
	v_mov_b32_e32 v16, v6
	v_mad_u64_u32 v[6:7], s[0:1], s2, v8, 0
	v_addc_co_u32_e32 v1, vcc, v39, v1, vcc
	v_mad_u64_u32 v[7:8], s[0:1], s3, v8, v[7:8]
	v_add_u32_e32 v8, 0x10e, v32
	global_store_dwordx2 v[0:1], v[9:10], off
	v_lshlrev_b64 v[0:1], 3, v[15:16]
	v_mul_hi_u32 v9, v8, s5
	v_add_co_u32_e32 v0, vcc, v36, v0
	v_addc_co_u32_e32 v1, vcc, v39, v1, vcc
	global_store_dwordx2 v[0:1], v[2:3], off
	v_lshrrev_b32_e32 v2, 9, v9
	v_mad_u32_u24 v9, v2, s4, v8
	v_mad_u64_u32 v[2:3], s[0:1], s2, v9, 0
	v_lshlrev_b64 v[0:1], 3, v[6:7]
	v_add_u32_e32 v10, 0x2a3, v9
	v_mad_u64_u32 v[6:7], s[0:1], s3, v9, v[3:4]
	v_mad_u64_u32 v[7:8], s[0:1], s2, v10, 0
	v_add_co_u32_e32 v0, vcc, v36, v0
	v_addc_co_u32_e32 v1, vcc, v39, v1, vcc
	v_mov_b32_e32 v3, v6
	global_store_dwordx2 v[0:1], v[4:5], off
	v_lshlrev_b64 v[0:1], 3, v[2:3]
	v_mov_b32_e32 v2, v8
	v_mad_u64_u32 v[2:3], s[0:1], s3, v10, v[2:3]
	v_add_u32_e32 v4, 0x546, v9
	v_add_co_u32_e32 v0, vcc, v36, v0
	v_mov_b32_e32 v8, v2
	v_mad_u64_u32 v[2:3], s[0:1], s2, v4, 0
	v_addc_co_u32_e32 v1, vcc, v39, v1, vcc
	v_mad_u64_u32 v[3:4], s[0:1], s3, v4, v[3:4]
	v_add_u32_e32 v4, 0x195, v32
	global_store_dwordx2 v[0:1], v[18:19], off
	v_lshlrev_b64 v[0:1], 3, v[7:8]
	v_mul_hi_u32 v5, v4, s5
	v_add_co_u32_e32 v0, vcc, v36, v0
	v_addc_co_u32_e32 v1, vcc, v39, v1, vcc
	global_store_dwordx2 v[0:1], v[11:12], off
	v_lshlrev_b64 v[0:1], 3, v[2:3]
	v_lshrrev_b32_e32 v2, 9, v5
	v_mad_u32_u24 v6, v2, s4, v4
	v_mad_u64_u32 v[2:3], s[0:1], s2, v6, 0
	v_add_u32_e32 v7, 0x2a3, v6
	v_add_co_u32_e32 v0, vcc, v36, v0
	v_mad_u64_u32 v[3:4], s[0:1], s3, v6, v[3:4]
	v_mad_u64_u32 v[4:5], s[0:1], s2, v7, 0
	v_addc_co_u32_e32 v1, vcc, v39, v1, vcc
	global_store_dwordx2 v[0:1], v[30:31], off
	v_lshlrev_b64 v[0:1], 3, v[2:3]
	v_mov_b32_e32 v2, v5
	v_mad_u64_u32 v[2:3], s[0:1], s3, v7, v[2:3]
	v_add_co_u32_e32 v0, vcc, v36, v0
	v_addc_co_u32_e32 v1, vcc, v39, v1, vcc
	v_mov_b32_e32 v5, v2
	global_store_dwordx2 v[0:1], v[41:42], off
	v_lshlrev_b64 v[0:1], 3, v[4:5]
	v_add_u32_e32 v4, 0x546, v6
	v_mad_u64_u32 v[2:3], s[0:1], s2, v4, 0
	v_add_u32_e32 v5, 0x21c, v32
	v_mul_hi_u32 v6, v5, s5
	v_mad_u64_u32 v[3:4], s[0:1], s3, v4, v[3:4]
	v_add_co_u32_e32 v0, vcc, v36, v0
	v_lshrrev_b32_e32 v4, 9, v6
	v_mad_u32_u24 v6, v4, s4, v5
	v_mad_u64_u32 v[4:5], s[0:1], s2, v6, 0
	v_mov_b32_e32 v38, v14
	v_fmac_f32_e32 v14, 0xbf5db3d7, v54
	v_addc_co_u32_e32 v1, vcc, v39, v1, vcc
	global_store_dwordx2 v[0:1], v[13:14], off
	v_lshlrev_b64 v[0:1], 3, v[2:3]
	v_mov_b32_e32 v2, v5
	v_mad_u64_u32 v[2:3], s[0:1], s3, v6, v[2:3]
	v_add_co_u32_e32 v0, vcc, v36, v0
	v_fmac_f32_e32 v38, 0x3f5db3d7, v54
	v_addc_co_u32_e32 v1, vcc, v39, v1, vcc
	v_mov_b32_e32 v5, v2
	global_store_dwordx2 v[0:1], v[37:38], off
	v_lshlrev_b64 v[0:1], 3, v[4:5]
	v_add_u32_e32 v4, 0x2a3, v6
	v_mad_u64_u32 v[2:3], s[0:1], s2, v4, 0
	v_add_u32_e32 v6, 0x546, v6
	v_add_co_u32_e32 v0, vcc, v36, v0
	v_mad_u64_u32 v[3:4], s[0:1], s3, v4, v[3:4]
	v_mad_u64_u32 v[4:5], s[0:1], s2, v6, 0
	v_addc_co_u32_e32 v1, vcc, v39, v1, vcc
	global_store_dwordx2 v[0:1], v[22:23], off
	v_lshlrev_b64 v[0:1], 3, v[2:3]
	v_mov_b32_e32 v2, v5
	v_mad_u64_u32 v[2:3], s[0:1], s3, v6, v[2:3]
	v_add_co_u32_e32 v0, vcc, v36, v0
	v_addc_co_u32_e32 v1, vcc, v39, v1, vcc
	v_mov_b32_e32 v5, v2
	global_store_dwordx2 v[0:1], v[20:21], off
	v_lshlrev_b64 v[0:1], 3, v[4:5]
	v_add_co_u32_e32 v0, vcc, v36, v0
	v_addc_co_u32_e32 v1, vcc, v39, v1, vcc
	global_store_dwordx2 v[0:1], v[24:25], off
.LBB0_15:
	s_endpgm
	.section	.rodata,"a",@progbits
	.p2align	6, 0x0
	.amdhsa_kernel fft_rtc_fwd_len2025_factors_3_3_5_5_3_3_wgs_135_tpt_135_halfLds_sp_ip_CI_sbrr_dirReg
		.amdhsa_group_segment_fixed_size 0
		.amdhsa_private_segment_fixed_size 0
		.amdhsa_kernarg_size 88
		.amdhsa_user_sgpr_count 6
		.amdhsa_user_sgpr_private_segment_buffer 1
		.amdhsa_user_sgpr_dispatch_ptr 0
		.amdhsa_user_sgpr_queue_ptr 0
		.amdhsa_user_sgpr_kernarg_segment_ptr 1
		.amdhsa_user_sgpr_dispatch_id 0
		.amdhsa_user_sgpr_flat_scratch_init 0
		.amdhsa_user_sgpr_private_segment_size 0
		.amdhsa_uses_dynamic_stack 0
		.amdhsa_system_sgpr_private_segment_wavefront_offset 0
		.amdhsa_system_sgpr_workgroup_id_x 1
		.amdhsa_system_sgpr_workgroup_id_y 0
		.amdhsa_system_sgpr_workgroup_id_z 0
		.amdhsa_system_sgpr_workgroup_info 0
		.amdhsa_system_vgpr_workitem_id 0
		.amdhsa_next_free_vgpr 83
		.amdhsa_next_free_sgpr 24
		.amdhsa_reserve_vcc 1
		.amdhsa_reserve_flat_scratch 0
		.amdhsa_float_round_mode_32 0
		.amdhsa_float_round_mode_16_64 0
		.amdhsa_float_denorm_mode_32 3
		.amdhsa_float_denorm_mode_16_64 3
		.amdhsa_dx10_clamp 1
		.amdhsa_ieee_mode 1
		.amdhsa_fp16_overflow 0
		.amdhsa_exception_fp_ieee_invalid_op 0
		.amdhsa_exception_fp_denorm_src 0
		.amdhsa_exception_fp_ieee_div_zero 0
		.amdhsa_exception_fp_ieee_overflow 0
		.amdhsa_exception_fp_ieee_underflow 0
		.amdhsa_exception_fp_ieee_inexact 0
		.amdhsa_exception_int_div_zero 0
	.end_amdhsa_kernel
	.text
.Lfunc_end0:
	.size	fft_rtc_fwd_len2025_factors_3_3_5_5_3_3_wgs_135_tpt_135_halfLds_sp_ip_CI_sbrr_dirReg, .Lfunc_end0-fft_rtc_fwd_len2025_factors_3_3_5_5_3_3_wgs_135_tpt_135_halfLds_sp_ip_CI_sbrr_dirReg
                                        ; -- End function
	.section	.AMDGPU.csdata,"",@progbits
; Kernel info:
; codeLenInByte = 11120
; NumSgprs: 28
; NumVgprs: 83
; ScratchSize: 0
; MemoryBound: 0
; FloatMode: 240
; IeeeMode: 1
; LDSByteSize: 0 bytes/workgroup (compile time only)
; SGPRBlocks: 3
; VGPRBlocks: 20
; NumSGPRsForWavesPerEU: 28
; NumVGPRsForWavesPerEU: 83
; Occupancy: 3
; WaveLimiterHint : 1
; COMPUTE_PGM_RSRC2:SCRATCH_EN: 0
; COMPUTE_PGM_RSRC2:USER_SGPR: 6
; COMPUTE_PGM_RSRC2:TRAP_HANDLER: 0
; COMPUTE_PGM_RSRC2:TGID_X_EN: 1
; COMPUTE_PGM_RSRC2:TGID_Y_EN: 0
; COMPUTE_PGM_RSRC2:TGID_Z_EN: 0
; COMPUTE_PGM_RSRC2:TIDIG_COMP_CNT: 0
	.type	__hip_cuid_ba464b70cde08e9c,@object ; @__hip_cuid_ba464b70cde08e9c
	.section	.bss,"aw",@nobits
	.globl	__hip_cuid_ba464b70cde08e9c
__hip_cuid_ba464b70cde08e9c:
	.byte	0                               ; 0x0
	.size	__hip_cuid_ba464b70cde08e9c, 1

	.ident	"AMD clang version 19.0.0git (https://github.com/RadeonOpenCompute/llvm-project roc-6.4.0 25133 c7fe45cf4b819c5991fe208aaa96edf142730f1d)"
	.section	".note.GNU-stack","",@progbits
	.addrsig
	.addrsig_sym __hip_cuid_ba464b70cde08e9c
	.amdgpu_metadata
---
amdhsa.kernels:
  - .args:
      - .actual_access:  read_only
        .address_space:  global
        .offset:         0
        .size:           8
        .value_kind:     global_buffer
      - .offset:         8
        .size:           8
        .value_kind:     by_value
      - .actual_access:  read_only
        .address_space:  global
        .offset:         16
        .size:           8
        .value_kind:     global_buffer
      - .actual_access:  read_only
        .address_space:  global
        .offset:         24
        .size:           8
        .value_kind:     global_buffer
      - .offset:         32
        .size:           8
        .value_kind:     by_value
      - .actual_access:  read_only
        .address_space:  global
        .offset:         40
        .size:           8
        .value_kind:     global_buffer
      - .actual_access:  read_only
        .address_space:  global
        .offset:         48
        .size:           8
        .value_kind:     global_buffer
      - .offset:         56
        .size:           4
        .value_kind:     by_value
      - .actual_access:  read_only
        .address_space:  global
        .offset:         64
        .size:           8
        .value_kind:     global_buffer
      - .actual_access:  read_only
        .address_space:  global
        .offset:         72
        .size:           8
        .value_kind:     global_buffer
      - .address_space:  global
        .offset:         80
        .size:           8
        .value_kind:     global_buffer
    .group_segment_fixed_size: 0
    .kernarg_segment_align: 8
    .kernarg_segment_size: 88
    .language:       OpenCL C
    .language_version:
      - 2
      - 0
    .max_flat_workgroup_size: 135
    .name:           fft_rtc_fwd_len2025_factors_3_3_5_5_3_3_wgs_135_tpt_135_halfLds_sp_ip_CI_sbrr_dirReg
    .private_segment_fixed_size: 0
    .sgpr_count:     28
    .sgpr_spill_count: 0
    .symbol:         fft_rtc_fwd_len2025_factors_3_3_5_5_3_3_wgs_135_tpt_135_halfLds_sp_ip_CI_sbrr_dirReg.kd
    .uniform_work_group_size: 1
    .uses_dynamic_stack: false
    .vgpr_count:     83
    .vgpr_spill_count: 0
    .wavefront_size: 64
amdhsa.target:   amdgcn-amd-amdhsa--gfx906
amdhsa.version:
  - 1
  - 2
...

	.end_amdgpu_metadata
